;; amdgpu-corpus repo=ROCm/rocFFT kind=compiled arch=gfx1030 opt=O3
	.text
	.amdgcn_target "amdgcn-amd-amdhsa--gfx1030"
	.amdhsa_code_object_version 6
	.protected	fft_rtc_back_len289_factors_17_17_wgs_119_tpt_17_dp_op_CI_CI_sbrc_xy_z_unaligned ; -- Begin function fft_rtc_back_len289_factors_17_17_wgs_119_tpt_17_dp_op_CI_CI_sbrc_xy_z_unaligned
	.globl	fft_rtc_back_len289_factors_17_17_wgs_119_tpt_17_dp_op_CI_CI_sbrc_xy_z_unaligned
	.p2align	8
	.type	fft_rtc_back_len289_factors_17_17_wgs_119_tpt_17_dp_op_CI_CI_sbrc_xy_z_unaligned,@function
fft_rtc_back_len289_factors_17_17_wgs_119_tpt_17_dp_op_CI_CI_sbrc_xy_z_unaligned: ; @fft_rtc_back_len289_factors_17_17_wgs_119_tpt_17_dp_op_CI_CI_sbrc_xy_z_unaligned
; %bb.0:
	s_clause 0x1
	s_load_dwordx4 s[8:11], s[4:5], 0x10
	s_load_dwordx2 s[24:25], s[4:5], 0x20
	s_waitcnt lgkmcnt(0)
	s_load_dwordx4 s[0:3], s[8:9], 0x8
	s_clause 0x1
	s_load_dwordx4 s[16:19], s[10:11], 0x0
	s_load_dwordx2 s[20:21], s[10:11], 0x10
	s_waitcnt lgkmcnt(0)
	s_add_i32 s3, s2, -1
	s_mul_hi_u32 s7, s3, 0x24924925
	s_sub_i32 s3, s3, s7
	s_lshr_b32 s3, s3, 1
	s_add_i32 s3, s3, s7
	s_lshr_b32 s3, s3, 2
	s_add_i32 s3, s3, 1
	s_mul_i32 s3, s3, s0
	v_cvt_f32_u32_e32 v1, s3
	s_sub_i32 s8, 0, s3
	v_rcp_iflag_f32_e32 v1, v1
	v_mul_f32_e32 v1, 0x4f7ffffe, v1
	v_cvt_u32_f32_e32 v1, v1
	v_readfirstlane_b32 s7, v1
	v_cvt_f32_u32_e32 v1, s0
	s_mul_i32 s8, s8, s7
	s_mul_hi_u32 s8, s7, s8
	s_add_i32 s7, s7, s8
	s_mul_hi_u32 s7, s6, s7
	s_mul_i32 s8, s7, s3
	s_add_i32 s9, s7, 1
	s_sub_i32 s8, s6, s8
	s_sub_i32 s12, s8, s3
	s_cmp_ge_u32 s8, s3
	s_cselect_b32 s7, s9, s7
	s_cselect_b32 s8, s12, s8
	s_add_i32 s9, s7, 1
	s_cmp_ge_u32 s8, s3
	s_cselect_b32 s33, s9, s7
	s_mov_b32 s7, 0
	s_mul_i32 s3, s33, s3
	s_mov_b32 s13, s7
	s_sub_i32 s12, s6, s3
	s_mov_b64 s[8:9], 0
	v_cmp_lt_u64_e64 s3, s[12:13], s[0:1]
	s_and_b32 vcc_lo, exec_lo, s3
	s_cbranch_vccnz .LBB0_2
; %bb.1:
	v_rcp_iflag_f32_e32 v2, v1
	s_sub_i32 s8, 0, s0
	v_mul_f32_e32 v2, 0x4f7ffffe, v2
	v_cvt_u32_f32_e32 v2, v2
	v_readfirstlane_b32 s3, v2
	s_mul_i32 s8, s8, s3
	s_mul_hi_u32 s8, s3, s8
	s_add_i32 s3, s3, s8
	s_mul_hi_u32 s3, s12, s3
	s_mul_i32 s8, s3, s0
	s_add_i32 s9, s3, 1
	s_sub_i32 s8, s12, s8
	s_sub_i32 s12, s8, s0
	s_cmp_ge_u32 s8, s0
	s_cselect_b32 s3, s9, s3
	s_cselect_b32 s8, s12, s8
	s_add_i32 s9, s3, 1
	s_cmp_ge_u32 s8, s0
	s_cselect_b32 s8, s9, s3
.LBB0_2:
	s_load_dwordx2 s[22:23], s[4:5], 0x58
	v_cmp_lt_u64_e64 s1, s[6:7], s[0:1]
	s_and_b32 vcc_lo, exec_lo, s1
	s_cbranch_vccnz .LBB0_4
; %bb.3:
	v_rcp_iflag_f32_e32 v1, v1
	s_sub_i32 s3, 0, s0
	v_mul_f32_e32 v1, 0x4f7ffffe, v1
	v_cvt_u32_f32_e32 v1, v1
	v_readfirstlane_b32 s1, v1
	s_mul_i32 s3, s3, s1
	s_mul_hi_u32 s3, s1, s3
	s_add_i32 s1, s1, s3
	s_mul_hi_u32 s1, s6, s1
	s_mul_i32 s1, s1, s0
	s_sub_i32 s1, s6, s1
	s_sub_i32 s3, s1, s0
	s_cmp_ge_u32 s1, s0
	s_cselect_b32 s1, s3, s1
	s_sub_i32 s3, s1, s0
	s_cmp_ge_u32 s1, s0
	s_cselect_b32 s6, s3, s1
.LBB0_4:
	s_load_dwordx4 s[12:15], s[4:5], 0x0
	s_mul_i32 s7, s8, 7
	s_mul_i32 s3, s6, s18
	;; [unrolled: 1-line block ×3, first 2 shown]
	v_lshl_add_u32 v3, v0, 4, 0
	s_add_i32 s3, s3, s8
	s_waitcnt lgkmcnt(0)
	s_lshl_b64 s[0:1], s[14:15], 3
	s_add_u32 s8, s10, s0
	s_addc_u32 s9, s11, s1
	s_load_dwordx2 s[8:9], s[8:9], 0x0
	s_waitcnt lgkmcnt(0)
	s_mul_i32 s9, s9, s33
	s_mul_hi_u32 s10, s8, s33
	s_mul_i32 s8, s8, s33
	s_add_i32 s10, s10, s9
	s_add_u32 s18, s8, s3
	s_addc_u32 s19, s10, 0
	s_add_u32 s0, s24, s0
	s_addc_u32 s1, s25, s1
	s_clause 0x2
	s_load_dwordx4 s[8:11], s[24:25], 0x0
	s_load_dwordx2 s[14:15], s[24:25], 0x10
	s_load_dwordx2 s[0:1], s[0:1], 0x0
	s_add_i32 s3, s7, 7
	s_waitcnt lgkmcnt(0)
	s_mov_b32 s15, -1
	s_cmp_le_u32 s3, s2
	s_mov_b32 s3, 0
	s_cselect_b32 s11, -1, 0
	s_and_b32 vcc_lo, exec_lo, s11
	s_cbranch_vccnz .LBB0_8
; %bb.5:
	s_lshl_b64 s[24:25], s[18:19], 4
	v_mov_b32_e32 v2, 0
	v_mov_b32_e32 v4, 0xe2c5
	;; [unrolled: 1-line block ×4, first 2 shown]
	s_add_u32 s15, s22, s24
	s_addc_u32 s21, s23, s25
	s_inst_prefetch 0x1
	.p2align	6
.LBB0_6:                                ; =>This Inner Loop Header: Depth=1
	v_mul_u32_u24_sdwa v1, v5, v4 dst_sel:DWORD dst_unused:UNUSED_PAD src0_sel:WORD_0 src1_sel:DWORD
	v_lshrrev_b32_e32 v10, 24, v1
	v_mul_lo_u16 v1, 0x121, v10
	v_sub_nc_u16 v1, v5, v1
	v_add_nc_u32_e32 v5, 0x77, v5
	v_and_b32_e32 v9, 0xffff, v1
	v_mad_u64_u32 v[7:8], null, s16, v9, 0
	v_mov_b32_e32 v1, v8
	v_mad_u64_u32 v[8:9], null, s17, v9, v[1:2]
	v_mul_lo_u32 v1, s20, v10
	v_lshlrev_b64 v[7:8], 4, v[7:8]
	v_lshlrev_b64 v[9:10], 4, v[1:2]
	v_add_co_u32 v1, vcc_lo, s15, v7
	v_add_co_ci_u32_e32 v8, vcc_lo, s21, v8, vcc_lo
	v_add_co_u32 v7, vcc_lo, v1, v9
	v_add_co_ci_u32_e32 v8, vcc_lo, v8, v10, vcc_lo
	v_cmp_lt_u32_e32 vcc_lo, 0x7e6, v5
	global_load_dwordx4 v[7:10], v[7:8], off
	s_or_b32 s3, vcc_lo, s3
	s_waitcnt vmcnt(0)
	ds_write_b128 v6, v[7:10]
	v_add_nc_u32_e32 v6, 0x770, v6
	s_andn2_b32 exec_lo, exec_lo, s3
	s_cbranch_execnz .LBB0_6
; %bb.7:
	s_inst_prefetch 0x2
	s_or_b32 exec_lo, exec_lo, s3
	s_mov_b32 s15, 0
.LBB0_8:
	v_and_b32_e32 v1, 0xffff, v0
	s_and_b32 vcc_lo, exec_lo, s15
	s_cbranch_vccz .LBB0_10
; %bb.9:
	v_add_nc_u32_e32 v6, 0xee, v0
	v_add_nc_u32_e32 v14, 0x165, v0
	;; [unrolled: 1-line block ×4, first 2 shown]
	v_mad_u64_u32 v[4:5], null, s16, v1, 0
	v_mul_u32_u24_e32 v2, 0xe3, v6
	v_mul_u32_u24_e32 v9, 0xe3, v14
	;; [unrolled: 1-line block ×3, first 2 shown]
	v_add_nc_u32_e32 v17, 0x253, v0
	s_lshl_b64 s[18:19], s[18:19], 4
	v_lshrrev_b32_e32 v12, 16, v2
	v_lshrrev_b32_e32 v18, 16, v9
	;; [unrolled: 1-line block ×3, first 2 shown]
	v_mul_u32_u24_e32 v19, 0xe3, v17
	v_mov_b32_e32 v2, 0
	v_mul_lo_u16 v7, 0x121, v12
	v_mul_lo_u16 v20, 0x121, v18
	s_add_u32 s3, s22, s18
	v_lshrrev_b32_e32 v25, 16, v19
	s_addc_u32 s15, s23, s19
	v_sub_nc_u16 v8, v6, v7
	v_mad_u64_u32 v[6:7], null, s16, v13, 0
	v_sub_nc_u16 v14, v14, v20
	v_add_nc_u32_e32 v22, 0x2ca, v0
	v_and_b32_e32 v16, 0xffff, v8
	v_add_nc_u32_e32 v26, 0x341, v0
	v_add_nc_u32_e32 v27, 0x3b8, v0
	v_and_b32_e32 v20, 0xffff, v14
	v_mad_u64_u32 v[10:11], null, s17, v1, v[5:6]
	v_mad_u64_u32 v[8:9], null, s16, v16, 0
	v_mov_b32_e32 v5, v7
	v_mul_lo_u32 v1, s20, v12
	v_add_nc_u32_e32 v31, 0x4a6, v0
	v_add_nc_u32_e32 v36, 0x594, v0
	;; [unrolled: 1-line block ×3, first 2 shown]
	v_mad_u64_u32 v[11:12], null, s17, v13, v[5:6]
	v_mov_b32_e32 v7, v9
	v_mul_lo_u16 v9, 0x121, v21
	v_mov_b32_e32 v5, v10
	v_add_nc_u32_e32 v39, 0x6f9, v0
	v_mad_u64_u32 v[12:13], null, s17, v16, v[7:8]
	v_mad_u64_u32 v[13:14], null, s16, v20, 0
	v_sub_nc_u16 v19, v15, v9
	v_lshlrev_b64 v[4:5], 4, v[4:5]
	v_mov_b32_e32 v7, v11
	v_lshlrev_b64 v[10:11], 4, v[1:2]
	v_mov_b32_e32 v9, v12
	v_mov_b32_e32 v1, v14
	v_lshlrev_b64 v[6:7], 4, v[6:7]
	v_add_co_u32 v4, vcc_lo, s3, v4
	v_lshlrev_b64 v[8:9], 4, v[8:9]
	v_add_co_ci_u32_e32 v5, vcc_lo, s15, v5, vcc_lo
	v_mad_u64_u32 v[14:15], null, s17, v20, v[1:2]
	v_add_co_u32 v1, vcc_lo, s3, v8
	v_add_co_ci_u32_e32 v12, vcc_lo, s15, v9, vcc_lo
	v_add_co_u32 v8, vcc_lo, s3, v6
	v_add_co_ci_u32_e32 v9, vcc_lo, s15, v7, vcc_lo
	;; [unrolled: 2-line block ×3, first 2 shown]
	v_mul_lo_u16 v11, 0x121, v25
	v_and_b32_e32 v10, 0xffff, v19
	v_mul_lo_u32 v1, s20, v18
	v_lshlrev_b64 v[6:7], 4, v[13:14]
	v_mul_u32_u24_e32 v14, 0xe3, v22
	v_sub_nc_u16 v11, v17, v11
	v_mad_u64_u32 v[12:13], null, s16, v10, 0
	v_add_co_u32 v19, vcc_lo, s3, v6
	v_and_b32_e32 v11, 0xffff, v11
	v_add_co_ci_u32_e32 v20, vcc_lo, s15, v7, vcc_lo
	v_lshlrev_b64 v[6:7], 4, v[1:2]
	v_lshrrev_b32_e32 v14, 16, v14
	v_mad_u64_u32 v[17:18], null, s16, v11, 0
	v_mov_b32_e32 v1, v13
	v_mul_lo_u16 v13, 0x121, v14
	v_add_co_u32 v19, vcc_lo, v19, v6
	v_add_co_ci_u32_e32 v20, vcc_lo, v20, v7, vcc_lo
	v_mad_u64_u32 v[6:7], null, s17, v10, v[1:2]
	v_mov_b32_e32 v7, v18
	v_sub_nc_u16 v13, v22, v13
	v_mul_lo_u32 v1, s20, v21
	v_mad_u64_u32 v[10:11], null, s17, v11, v[7:8]
	v_mul_u32_u24_e32 v11, 0xe3, v26
	v_and_b32_e32 v7, 0xffff, v13
	v_mov_b32_e32 v13, v6
	v_mul_u32_u24_e32 v6, 0x717, v27
	v_lshlrev_b64 v[23:24], 4, v[1:2]
	v_lshrrev_b32_e32 v53, 16, v11
	v_add_nc_u32_e32 v11, 0x42f, v0
	v_mad_u64_u32 v[21:22], null, s16, v7, 0
	v_lshrrev_b32_e32 v54, 19, v6
	v_mov_b32_e32 v18, v10
	v_mul_u32_u24_e32 v28, 0x717, v11
	v_mul_lo_u16 v10, 0x121, v53
	v_mul_lo_u32 v1, s20, v25
	v_mov_b32_e32 v6, v22
	v_mul_lo_u16 v22, 0x121, v54
	v_lshrrev_b32_e32 v55, 19, v28
	v_sub_nc_u16 v10, v26, v10
	v_lshlrev_b64 v[17:18], 4, v[17:18]
	v_mad_u64_u32 v[6:7], null, s17, v7, v[6:7]
	v_sub_nc_u16 v7, v27, v22
	v_mul_lo_u16 v22, 0x121, v55
	v_and_b32_e32 v10, 0xffff, v10
	v_and_b32_e32 v32, 0xffff, v7
	v_sub_nc_u16 v7, v11, v22
	v_mul_u32_u24_e32 v11, 0x717, v31
	v_add_nc_u32_e32 v22, 0x51d, v0
	v_mad_u64_u32 v[25:26], null, s16, v10, 0
	v_and_b32_e32 v33, 0xffff, v7
	v_lshrrev_b32_e32 v56, 19, v11
	v_mul_u32_u24_e32 v11, 0x717, v22
	v_mad_u64_u32 v[27:28], null, s16, v32, 0
	v_mad_u64_u32 v[29:30], null, s16, v33, 0
	v_mov_b32_e32 v7, v26
	v_mul_lo_u16 v26, 0x121, v56
	v_lshrrev_b32_e32 v57, 19, v11
	v_mad_u64_u32 v[10:11], null, s17, v10, v[7:8]
	v_mov_b32_e32 v7, v28
	v_sub_nc_u16 v26, v31, v26
	v_mul_lo_u16 v28, 0x121, v57
	v_mov_b32_e32 v11, v30
	v_mad_u64_u32 v[30:31], null, s17, v32, v[7:8]
	v_and_b32_e32 v7, 0xffff, v26
	v_sub_nc_u16 v22, v22, v28
	v_mad_u64_u32 v[31:32], null, s17, v33, v[11:12]
	v_mov_b32_e32 v26, v10
	v_mad_u64_u32 v[32:33], null, s16, v7, 0
	v_and_b32_e32 v11, 0xffff, v22
	v_mov_b32_e32 v22, v6
	v_mul_u32_u24_e32 v10, 0x717, v36
	v_mov_b32_e32 v28, v30
	v_mov_b32_e32 v30, v31
	v_mad_u64_u32 v[34:35], null, s16, v11, 0
	v_mov_b32_e32 v6, v33
	v_add_nc_u32_e32 v31, 0x60b, v0
	v_lshrrev_b32_e32 v58, 19, v10
	v_lshlrev_b64 v[12:13], 4, v[12:13]
	v_lshlrev_b64 v[21:22], 4, v[21:22]
	v_mad_u64_u32 v[6:7], null, s17, v7, v[6:7]
	v_mov_b32_e32 v7, v35
	v_mul_u32_u24_e32 v33, 0x717, v31
	v_mul_u32_u24_e32 v35, 0x717, v39
	v_add_co_u32 v12, vcc_lo, s3, v12
	v_mad_u64_u32 v[10:11], null, s17, v11, v[7:8]
	v_mul_lo_u16 v7, 0x121, v58
	v_lshrrev_b32_e32 v59, 19, v33
	v_mul_u32_u24_e32 v11, 0x717, v38
	v_mov_b32_e32 v33, v6
	v_lshrrev_b32_e32 v61, 19, v35
	v_sub_nc_u16 v6, v36, v7
	v_add_nc_u32_e32 v7, 0x770, v0
	v_mul_lo_u16 v36, 0x121, v59
	v_lshrrev_b32_e32 v60, 19, v11
	v_mov_b32_e32 v35, v10
	v_and_b32_e32 v11, 0xffff, v6
	v_mul_u32_u24_e32 v10, 0x717, v7
	v_sub_nc_u16 v6, v31, v36
	v_mul_lo_u16 v31, 0x121, v60
	v_mul_lo_u16 v40, 0x121, v61
	v_mad_u64_u32 v[36:37], null, s16, v11, 0
	v_lshrrev_b32_e32 v62, 19, v10
	v_and_b32_e32 v46, 0xffff, v6
	v_sub_nc_u16 v6, v38, v31
	v_sub_nc_u16 v31, v39, v40
	v_add_co_ci_u32_e32 v13, vcc_lo, s15, v13, vcc_lo
	v_mul_lo_u16 v10, 0x121, v62
	v_mad_u64_u32 v[38:39], null, s16, v46, 0
	v_and_b32_e32 v48, 0xffff, v6
	v_and_b32_e32 v31, 0xffff, v31
	v_sub_nc_u16 v7, v7, v10
	v_mov_b32_e32 v6, v37
	v_lshlrev_b64 v[25:26], 4, v[25:26]
	v_mad_u64_u32 v[40:41], null, s16, v48, 0
	v_and_b32_e32 v37, 0xffff, v7
	v_mad_u64_u32 v[42:43], null, s16, v31, 0
	v_mov_b32_e32 v7, v39
	v_lshlrev_b64 v[27:28], 4, v[27:28]
	v_mad_u64_u32 v[44:45], null, s16, v37, 0
	v_lshlrev_b64 v[29:30], 4, v[29:30]
	v_mad_u64_u32 v[10:11], null, s17, v11, v[6:7]
	v_mov_b32_e32 v6, v41
	v_mad_u64_u32 v[46:47], null, s17, v46, v[7:8]
	v_mov_b32_e32 v7, v43
	;; [unrolled: 2-line block ×3, first 2 shown]
	v_mad_u64_u32 v[48:49], null, s17, v31, v[7:8]
	v_lshlrev_b64 v[49:50], 4, v[1:2]
	v_mul_lo_u32 v1, s20, v14
	v_mad_u64_u32 v[51:52], null, s17, v37, v[6:7]
	v_mov_b32_e32 v37, v10
	v_mov_b32_e32 v39, v46
	;; [unrolled: 1-line block ×4, first 2 shown]
	v_add_co_u32 v14, vcc_lo, s3, v17
	v_mov_b32_e32 v45, v51
	v_add_co_ci_u32_e32 v17, vcc_lo, s15, v18, vcc_lo
	v_add_co_u32 v18, vcc_lo, s3, v21
	v_lshlrev_b64 v[31:32], 4, v[32:33]
	v_lshlrev_b64 v[33:34], 4, v[34:35]
	;; [unrolled: 1-line block ×7, first 2 shown]
	v_add_co_ci_u32_e32 v45, vcc_lo, s15, v22, vcc_lo
	v_lshlrev_b64 v[46:47], 4, v[1:2]
	v_mul_lo_u32 v1, s20, v53
	v_add_co_u32 v48, vcc_lo, s3, v25
	v_add_co_ci_u32_e32 v51, vcc_lo, s15, v26, vcc_lo
	v_add_co_u32 v52, vcc_lo, s3, v27
	v_add_co_ci_u32_e32 v53, vcc_lo, s15, v28, vcc_lo
	;; [unrolled: 2-line block ×3, first 2 shown]
	v_lshlrev_b64 v[12:13], 4, v[1:2]
	v_mul_lo_u32 v1, s20, v54
	v_add_co_u32 v54, vcc_lo, s3, v29
	v_add_co_ci_u32_e32 v63, vcc_lo, s15, v30, vcc_lo
	v_add_co_u32 v64, vcc_lo, s3, v31
	v_add_co_ci_u32_e32 v65, vcc_lo, s15, v32, vcc_lo
	v_lshlrev_b64 v[23:24], 4, v[1:2]
	v_mul_lo_u32 v1, s20, v55
	v_add_co_u32 v55, vcc_lo, s3, v33
	v_add_co_ci_u32_e32 v66, vcc_lo, s15, v34, vcc_lo
	v_add_co_u32 v25, vcc_lo, v14, v49
	v_add_co_ci_u32_e32 v26, vcc_lo, v17, v50, vcc_lo
	;; [unrolled: 6-line block ×9, first 2 shown]
	v_lshlrev_b64 v[1:2], 4, v[1:2]
	v_add_co_u32 v64, vcc_lo, v58, v54
	v_add_co_ci_u32_e32 v65, vcc_lo, v72, v55, vcc_lo
	s_clause 0x1
	global_load_dwordx4 v[4:7], v[4:5], off
	global_load_dwordx4 v[8:11], v[8:9], off
	v_add_co_u32 v1, vcc_lo, v73, v1
	s_clause 0x7
	global_load_dwordx4 v[12:15], v[15:16], off
	global_load_dwordx4 v[16:19], v[19:20], off
	;; [unrolled: 1-line block ×8, first 2 shown]
	v_add_co_ci_u32_e32 v2, vcc_lo, v74, v2, vcc_lo
	s_clause 0x6
	global_load_dwordx4 v[44:47], v[45:46], off
	global_load_dwordx4 v[48:51], v[49:50], off
	;; [unrolled: 1-line block ×7, first 2 shown]
	s_waitcnt vmcnt(16)
	ds_write_b128 v3, v[4:7]
	s_waitcnt vmcnt(15)
	ds_write_b128 v3, v[8:11] offset:1904
	s_waitcnt vmcnt(14)
	ds_write_b128 v3, v[12:15] offset:3808
	;; [unrolled: 2-line block ×16, first 2 shown]
.LBB0_10:
	v_mov_b32_e32 v1, 0xf10
	s_waitcnt lgkmcnt(0)
	s_barrier
	buffer_gl0_inv
	s_mov_b32 s50, 0x5d8e7cdc
	v_mul_u32_u24_sdwa v1, v0, v1 dst_sel:DWORD dst_unused:UNUSED_PAD src0_sel:WORD_0 src1_sel:DWORD
	s_mov_b32 s52, 0x370991
	s_mov_b32 s51, 0xbfd71e95
	;; [unrolled: 1-line block ×4, first 2 shown]
	v_add_nc_u32_sdwa v1, s7, v1 dst_sel:DWORD dst_unused:UNUSED_PAD src0_sel:DWORD src1_sel:WORD_1
	s_mov_b32 s30, 0x75d4884
	s_mov_b32 s35, 0xbfe58eea
	;; [unrolled: 1-line block ×4, first 2 shown]
	v_mul_hi_u32 v2, 0x24924925, v1
	s_mov_b32 s60, s50
	s_mov_b32 s26, 0x7c9e640b
	;; [unrolled: 1-line block ×7, first 2 shown]
	v_sub_nc_u32_e32 v3, v1, v2
	s_mov_b32 s62, 0x910ea3b9
	s_mov_b32 s48, 0x7faef3
	;; [unrolled: 1-line block ×4, first 2 shown]
	v_lshrrev_b32_e32 v3, 1, v3
	s_mov_b32 s25, 0xbfefdd0d
	s_mov_b32 s23, 0x3fb79ee6
	;; [unrolled: 1-line block ×4, first 2 shown]
	v_add_nc_u32_e32 v2, v3, v2
	v_mul_hi_u32 v3, 0xf0f0f10, v0
	s_mov_b32 s63, 0xbfeb34fa
	s_mov_b32 s49, 0xbfef7484
	;; [unrolled: 1-line block ×3, first 2 shown]
	v_lshrrev_b32_e32 v2, 2, v2
	s_mov_b32 s36, s34
	s_mov_b32 s18, 0x6c9a05f6
	;; [unrolled: 1-line block ×4, first 2 shown]
	v_mul_lo_u32 v2, v2, 7
	s_mov_b32 s43, 0x3fefdd0d
	s_mov_b32 s38, s26
	;; [unrolled: 1-line block ×7, first 2 shown]
	v_sub_nc_u32_e32 v1, v1, v2
	v_mul_u32_u24_e32 v2, 17, v3
	s_mov_b32 s57, 0xbfe0d888
	s_mov_b32 s45, 0xbfc7851a
	;; [unrolled: 1-line block ×3, first 2 shown]
	v_mul_u32_u24_e32 v1, 0x121, v1
	v_sub_nc_u32_e32 v147, v0, v2
	s_mov_b32 s58, s18
	s_mov_b32 s47, 0x3feec746
	;; [unrolled: 1-line block ×3, first 2 shown]
	v_lshlrev_b32_e32 v1, 4, v1
	v_lshlrev_b32_e32 v2, 4, v147
	s_mov_b32 s46, s20
	s_mov_b32 s64, s56
	;; [unrolled: 1-line block ×3, first 2 shown]
	v_add_nc_u32_e32 v148, 0, v1
	v_add3_u32 v145, 0, v2, v1
	s_mov_b32 s54, s44
	s_mov_b32 s3, 0
	v_add_nc_u32_e32 v146, v148, v2
	ds_read_b128 v[5:8], v145 offset:272
	ds_read_b128 v[1:4], v146
	ds_read_b128 v[21:24], v145 offset:544
	ds_read_b128 v[9:12], v145 offset:816
	s_waitcnt lgkmcnt(2)
	v_add_f64 v[15:16], v[3:4], v[7:8]
	v_add_f64 v[13:14], v[1:2], v[5:6]
	s_waitcnt lgkmcnt(1)
	v_add_f64 v[15:16], v[15:16], v[23:24]
	v_add_f64 v[13:14], v[13:14], v[21:22]
	;; [unrolled: 3-line block ×3, first 2 shown]
	ds_read_b128 v[13:16], v145 offset:1088
	ds_read_b128 v[17:20], v145 offset:1360
	;; [unrolled: 1-line block ×7, first 2 shown]
	s_waitcnt lgkmcnt(6)
	v_add_f64 v[27:28], v[27:28], v[15:16]
	v_add_f64 v[25:26], v[25:26], v[13:14]
	s_waitcnt lgkmcnt(3)
	v_add_f64 v[41:42], v[37:38], -v[53:54]
	s_waitcnt lgkmcnt(2)
	v_add_f64 v[99:100], v[23:24], v[111:112]
	v_add_f64 v[101:102], v[23:24], -v[111:112]
	v_add_f64 v[67:68], v[21:22], v[109:110]
	v_add_f64 v[21:22], v[21:22], -v[109:110]
	s_waitcnt lgkmcnt(0)
	v_add_f64 v[23:24], v[47:48], v[77:78]
	v_add_f64 v[45:46], v[49:50], v[79:80]
	;; [unrolled: 1-line block ×4, first 2 shown]
	ds_read_b128 v[25:28], v145 offset:1632
	v_mul_f64 v[87:88], v[99:100], s[30:31]
	v_mul_f64 v[97:98], v[101:102], s[34:35]
	;; [unrolled: 1-line block ×4, first 2 shown]
	s_waitcnt lgkmcnt(0)
	v_add_f64 v[31:32], v[31:32], v[27:28]
	v_add_f64 v[29:30], v[29:30], v[25:26]
	v_fma_f64 v[163:164], v[21:22], s[36:37], v[87:88]
	v_fma_f64 v[159:160], v[67:68], s[30:31], v[97:98]
	;; [unrolled: 1-line block ×5, first 2 shown]
	v_add_f64 v[39:40], v[31:32], v[49:50]
	v_add_f64 v[33:34], v[29:30], v[47:48]
	ds_read_b128 v[29:32], v145 offset:4352
	ds_read_b128 v[89:92], v145 offset:2992
	;; [unrolled: 1-line block ×5, first 2 shown]
	s_waitcnt lgkmcnt(0)
	s_barrier
	buffer_gl0_inv
	v_add_f64 v[65:66], v[19:20], -v[107:108]
	v_add_f64 v[55:56], v[39:40], v[37:38]
	v_add_f64 v[85:86], v[7:8], -v[31:32]
	v_add_f64 v[7:8], v[7:8], v[31:32]
	v_add_f64 v[43:44], v[33:34], v[35:36]
	;; [unrolled: 1-line block ×3, first 2 shown]
	v_add_f64 v[123:124], v[5:6], -v[29:30]
	v_add_f64 v[61:62], v[11:12], v[119:120]
	v_add_f64 v[63:64], v[11:12], -v[119:120]
	v_add_f64 v[57:58], v[13:14], v[113:114]
	;; [unrolled: 2-line block ×4, first 2 shown]
	v_add_f64 v[39:40], v[37:38], v[53:54]
	v_add_f64 v[37:38], v[47:48], -v[77:78]
	v_add_f64 v[47:48], v[49:50], -v[79:80]
	v_add_f64 v[33:34], v[35:36], v[51:52]
	v_add_f64 v[35:36], v[35:36], -v[51:52]
	v_add_f64 v[49:50], v[17:18], -v[105:106]
	v_mul_f64 v[177:178], v[65:66], s[64:65]
	v_add_f64 v[73:74], v[55:56], v[53:54]
	v_mul_f64 v[11:12], v[85:86], s[50:51]
	v_mul_f64 v[13:14], v[7:8], s[52:53]
	v_add_f64 v[5:6], v[43:44], v[51:52]
	v_mul_f64 v[93:94], v[7:8], s[30:31]
	v_mul_f64 v[133:134], v[7:8], s[16:17]
	;; [unrolled: 1-line block ×10, first 2 shown]
	v_add_f64 v[55:56], v[19:20], v[107:108]
	v_mul_f64 v[165:166], v[63:64], s[18:19]
	v_mul_f64 v[167:168], v[61:62], s[40:41]
	v_add_f64 v[51:52], v[27:28], v[91:92]
	v_add_f64 v[53:54], v[27:28], -v[91:92]
	v_add_f64 v[27:28], v[17:18], v[105:106]
	v_mul_f64 v[17:18], v[85:86], s[26:27]
	v_mul_f64 v[19:20], v[85:86], s[24:25]
	v_add_f64 v[15:16], v[73:74], v[79:80]
	v_add_f64 v[73:74], v[9:10], -v[117:118]
	v_mul_f64 v[9:10], v[85:86], s[34:35]
	v_fma_f64 v[95:96], v[121:122], s[52:53], v[11:12]
	v_fma_f64 v[139:140], v[123:124], s[60:61], v[13:14]
	v_add_f64 v[5:6], v[5:6], v[77:78]
	v_fma_f64 v[155:156], v[123:124], s[36:37], v[93:94]
	v_fma_f64 v[157:158], v[123:124], s[34:35], v[93:94]
	v_mul_f64 v[77:78], v[75:76], s[24:25]
	v_mul_f64 v[79:80], v[71:72], s[22:23]
	v_fma_f64 v[181:182], v[69:70], s[16:17], v[81:82]
	v_mul_f64 v[125:126], v[85:86], s[20:21]
	v_mul_f64 v[127:128], v[85:86], s[18:19]
	v_fma_f64 v[173:174], v[67:68], s[22:23], v[7:8]
	v_fma_f64 v[7:8], v[67:68], s[22:23], -v[7:8]
	v_mul_f64 v[129:130], v[85:86], s[56:57]
	v_mul_f64 v[131:132], v[85:86], s[44:45]
	;; [unrolled: 1-line block ×5, first 2 shown]
	v_add_f64 v[43:44], v[25:26], v[89:90]
	v_add_f64 v[25:26], v[25:26], -v[89:90]
	v_add_f64 v[15:16], v[15:16], v[91:92]
	v_mul_f64 v[91:92], v[51:52], s[40:41]
	v_fma_f64 v[151:152], v[121:122], s[30:31], v[9:10]
	v_fma_f64 v[9:10], v[121:122], s[30:31], -v[9:10]
	v_add_f64 v[161:162], v[1:2], v[95:96]
	v_add_f64 v[139:140], v[3:4], v[139:140]
	;; [unrolled: 1-line block ×5, first 2 shown]
	v_mul_f64 v[171:172], v[71:72], s[48:49]
	v_mul_f64 v[89:90], v[53:54], s[18:19]
	;; [unrolled: 1-line block ×5, first 2 shown]
	v_fma_f64 v[11:12], v[121:122], s[52:53], -v[11:12]
	v_fma_f64 v[13:14], v[123:124], s[50:51], v[13:14]
	v_fma_f64 v[187:188], v[123:124], s[18:19], v[141:142]
	v_fma_f64 v[189:190], v[123:124], s[64:65], v[143:144]
	v_fma_f64 v[143:144], v[123:124], s[56:57], v[143:144]
	v_fma_f64 v[191:192], v[123:124], s[54:55], v[149:150]
	v_fma_f64 v[149:150], v[123:124], s[44:45], v[149:150]
	v_mul_f64 v[183:184], v[47:48], s[38:39]
	v_add_f64 v[15:16], v[15:16], v[107:108]
	v_mul_f64 v[107:108], v[39:40], s[48:49]
	v_add_f64 v[151:152], v[1:2], v[151:152]
	v_add_f64 v[9:10], v[1:2], v[9:10]
	;; [unrolled: 1-line block ×3, first 2 shown]
	v_fma_f64 v[161:162], v[73:74], s[38:39], v[83:84]
	v_add_f64 v[139:140], v[163:164], v[139:140]
	v_add_f64 v[5:6], v[5:6], v[105:106]
	;; [unrolled: 1-line block ×4, first 2 shown]
	v_fma_f64 v[157:158], v[57:58], s[22:23], v[77:78]
	v_mul_f64 v[163:164], v[53:54], s[46:47]
	v_mul_f64 v[175:176], v[99:100], s[40:41]
	;; [unrolled: 1-line block ×5, first 2 shown]
	v_add_f64 v[15:16], v[15:16], v[115:116]
	v_fma_f64 v[115:116], v[69:70], s[40:41], v[165:166]
	v_add_f64 v[151:152], v[173:174], v[151:152]
	v_fma_f64 v[173:174], v[73:74], s[58:59], v[167:168]
	v_fma_f64 v[165:166], v[69:70], s[40:41], -v[165:166]
	v_add_f64 v[7:8], v[7:8], v[9:10]
	v_add_f64 v[159:160], v[181:182], v[159:160]
	v_fma_f64 v[181:182], v[59:60], s[42:43], v[79:80]
	v_add_f64 v[139:140], v[161:162], v[139:140]
	v_add_f64 v[5:6], v[5:6], v[113:114]
	v_fma_f64 v[167:168], v[73:74], s[18:19], v[167:168]
	v_mul_f64 v[113:114], v[51:52], s[28:29]
	v_mul_f64 v[9:10], v[101:102], s[18:19]
	v_fma_f64 v[161:162], v[121:122], s[16:17], v[17:18]
	v_fma_f64 v[17:18], v[121:122], s[16:17], -v[17:18]
	v_add_f64 v[15:16], v[15:16], v[119:120]
	v_fma_f64 v[119:120], v[121:122], s[28:29], v[125:126]
	v_add_f64 v[115:116], v[115:116], v[151:152]
	v_add_f64 v[155:156], v[173:174], v[155:156]
	v_fma_f64 v[173:174], v[57:58], s[48:49], v[169:170]
	v_add_f64 v[7:8], v[165:166], v[7:8]
	v_fma_f64 v[169:170], v[57:58], s[48:49], -v[169:170]
	v_add_f64 v[157:158], v[157:158], v[159:160]
	v_fma_f64 v[159:160], v[27:28], s[28:29], v[85:86]
	v_add_f64 v[139:140], v[181:182], v[139:140]
	v_fma_f64 v[181:182], v[49:50], s[46:47], v[103:104]
	v_add_f64 v[5:6], v[5:6], v[117:118]
	v_fma_f64 v[165:166], v[59:60], s[54:55], v[171:172]
	v_add_f64 v[153:154], v[167:168], v[153:154]
	v_fma_f64 v[171:172], v[59:60], s[44:45], v[171:172]
	v_fma_f64 v[117:118], v[121:122], s[22:23], v[19:20]
	v_fma_f64 v[19:20], v[121:122], s[22:23], -v[19:20]
	v_fma_f64 v[125:126], v[121:122], s[28:29], -v[125:126]
	v_fma_f64 v[151:152], v[121:122], s[40:41], v[127:128]
	v_fma_f64 v[127:128], v[121:122], s[40:41], -v[127:128]
	v_fma_f64 v[167:168], v[121:122], s[62:63], v[129:130]
	v_fma_f64 v[129:130], v[121:122], s[62:63], -v[129:130]
	v_add_f64 v[15:16], v[15:16], v[111:112]
	v_fma_f64 v[111:112], v[121:122], s[48:49], -v[131:132]
	v_fma_f64 v[197:198], v[67:68], s[40:41], v[9:10]
	v_fma_f64 v[199:200], v[25:26], s[46:47], v[113:114]
	v_add_f64 v[115:116], v[173:174], v[115:116]
	v_fma_f64 v[173:174], v[27:28], s[62:63], v[177:178]
	v_fma_f64 v[177:178], v[27:28], s[62:63], -v[177:178]
	v_add_f64 v[169:170], v[169:170], v[7:8]
	v_add_f64 v[157:158], v[159:160], v[157:158]
	v_fma_f64 v[159:160], v[25:26], s[58:59], v[91:92]
	v_add_f64 v[139:140], v[181:182], v[139:140]
	v_add_f64 v[5:6], v[5:6], v[109:110]
	v_fma_f64 v[109:110], v[121:122], s[48:49], v[131:132]
	v_fma_f64 v[121:122], v[123:124], s[38:39], v[133:134]
	;; [unrolled: 1-line block ×5, first 2 shown]
	v_add_f64 v[155:156], v[165:166], v[155:156]
	v_fma_f64 v[165:166], v[49:50], s[56:57], v[179:180]
	v_fma_f64 v[179:180], v[49:50], s[64:65], v[179:180]
	v_add_f64 v[153:154], v[171:172], v[153:154]
	v_fma_f64 v[171:172], v[43:44], s[40:41], v[89:90]
	v_fma_f64 v[181:182], v[123:124], s[46:47], v[137:138]
	;; [unrolled: 1-line block ×3, first 2 shown]
	v_add_f64 v[7:8], v[15:16], v[31:32]
	v_fma_f64 v[15:16], v[123:124], s[58:59], v[141:142]
	v_add_f64 v[31:32], v[1:2], v[11:12]
	v_add_f64 v[173:174], v[173:174], v[115:116]
	;; [unrolled: 1-line block ×4, first 2 shown]
	v_fma_f64 v[177:178], v[37:38], s[64:65], v[95:96]
	v_add_f64 v[161:162], v[1:2], v[117:118]
	v_add_f64 v[159:160], v[159:160], v[139:140]
	;; [unrolled: 1-line block ×10, first 2 shown]
	v_fma_f64 v[165:166], v[23:24], s[62:63], v[93:94]
	v_add_f64 v[153:154], v[179:180], v[153:154]
	v_fma_f64 v[179:180], v[43:44], s[28:29], v[163:164]
	v_add_f64 v[157:158], v[171:172], v[157:158]
	v_fma_f64 v[171:172], v[25:26], s[20:21], v[113:114]
	v_fma_f64 v[163:164], v[43:44], s[28:29], -v[163:164]
	v_add_f64 v[181:182], v[3:4], v[181:182]
	v_add_f64 v[209:210], v[3:4], v[137:138]
	;; [unrolled: 1-line block ×10, first 2 shown]
	v_fma_f64 v[3:4], v[21:22], s[58:59], v[175:176]
	v_fma_f64 v[125:126], v[35:36], s[54:55], v[107:108]
	v_add_f64 v[127:128], v[177:178], v[159:160]
	v_add_f64 v[17:18], v[1:2], v[17:18]
	;; [unrolled: 1-line block ×8, first 2 shown]
	v_fma_f64 v[1:2], v[33:34], s[48:49], v[105:106]
	v_add_f64 v[15:16], v[165:166], v[157:158]
	v_mul_f64 v[129:130], v[41:42], s[60:61]
	v_add_f64 v[11:12], v[197:198], v[11:12]
	v_mul_f64 v[137:138], v[39:40], s[52:53]
	v_add_f64 v[143:144], v[179:180], v[173:174]
	v_fma_f64 v[149:150], v[23:24], s[16:17], v[183:184]
	v_add_f64 v[151:152], v[171:172], v[155:156]
	v_fma_f64 v[155:156], v[37:38], s[26:27], v[185:186]
	v_fma_f64 v[9:10], v[67:68], s[40:41], -v[9:10]
	v_fma_f64 v[157:158], v[23:24], s[16:17], -v[183:184]
	v_add_f64 v[159:160], v[163:164], v[169:170]
	v_mul_f64 v[163:164], v[75:76], s[46:47]
	v_add_f64 v[153:154], v[199:200], v[153:154]
	v_fma_f64 v[165:166], v[69:70], s[48:49], v[193:194]
	v_fma_f64 v[167:168], v[37:38], s[38:39], v[185:186]
	v_add_f64 v[13:14], v[3:4], v[13:14]
	v_fma_f64 v[169:170], v[73:74], s[44:45], v[195:196]
	v_add_f64 v[3:4], v[125:126], v[127:128]
	v_mul_f64 v[125:126], v[71:72], s[28:29]
	v_fma_f64 v[171:172], v[69:70], s[48:49], -v[193:194]
	v_fma_f64 v[177:178], v[73:74], s[54:55], v[195:196]
	v_mul_f64 v[183:184], v[75:76], s[26:27]
	v_add_f64 v[1:2], v[1:2], v[15:16]
	v_fma_f64 v[15:16], v[33:34], s[52:53], v[129:130]
	v_fma_f64 v[129:130], v[33:34], s[52:53], -v[129:130]
	v_mul_f64 v[185:186], v[53:54], s[42:43]
	v_add_f64 v[29:30], v[87:88], v[29:30]
	v_add_f64 v[127:128], v[149:150], v[143:144]
	v_fma_f64 v[143:144], v[35:36], s[50:51], v[137:138]
	v_add_f64 v[149:150], v[155:156], v[151:152]
	v_mul_f64 v[151:152], v[101:102], s[44:45]
	v_fma_f64 v[155:156], v[21:22], s[18:19], v[175:176]
	v_add_f64 v[9:10], v[9:10], v[17:18]
	v_mul_f64 v[17:18], v[99:100], s[48:49]
	v_add_f64 v[157:158], v[157:158], v[159:160]
	v_mul_f64 v[159:160], v[65:66], s[36:37]
	v_fma_f64 v[137:138], v[35:36], s[60:61], v[137:138]
	v_add_f64 v[153:154], v[167:168], v[153:154]
	v_mul_f64 v[167:168], v[55:56], s[30:31]
	v_add_f64 v[165:166], v[165:166], v[11:12]
	v_fma_f64 v[173:174], v[57:58], s[28:29], v[163:164]
	v_add_f64 v[169:170], v[169:170], v[13:14]
	v_fma_f64 v[175:176], v[59:60], s[20:21], v[125:126]
	v_fma_f64 v[163:164], v[57:58], s[28:29], -v[163:164]
	v_fma_f64 v[125:126], v[59:60], s[46:47], v[125:126]
	v_fma_f64 v[105:106], v[33:34], s[48:49], -v[105:106]
	v_fma_f64 v[107:108], v[35:36], s[44:45], v[107:108]
	v_add_f64 v[13:14], v[15:16], v[127:128]
	v_mul_f64 v[127:128], v[63:64], s[46:47]
	v_add_f64 v[15:16], v[143:144], v[149:150]
	v_fma_f64 v[143:144], v[67:68], s[48:49], v[151:152]
	v_add_f64 v[131:132], v[155:156], v[131:132]
	v_fma_f64 v[151:152], v[67:68], s[48:49], -v[151:152]
	v_fma_f64 v[149:150], v[21:22], s[54:55], v[17:18]
	v_add_f64 v[155:156], v[171:172], v[9:10]
	v_mul_f64 v[171:172], v[61:62], s[28:29]
	v_add_f64 v[9:10], v[129:130], v[157:158]
	v_add_f64 v[11:12], v[137:138], v[153:154]
	v_mul_f64 v[137:138], v[53:54], s[50:51]
	v_fma_f64 v[129:130], v[27:28], s[30:31], v[159:160]
	v_add_f64 v[153:154], v[173:174], v[165:166]
	v_fma_f64 v[157:158], v[49:50], s[34:35], v[167:168]
	v_add_f64 v[165:166], v[175:176], v[169:170]
	v_mul_f64 v[169:170], v[51:52], s[52:53]
	v_fma_f64 v[159:160], v[27:28], s[30:31], -v[159:160]
	v_fma_f64 v[167:168], v[49:50], s[36:37], v[167:168]
	v_fma_f64 v[173:174], v[69:70], s[28:29], v[127:128]
	v_fma_f64 v[127:128], v[69:70], s[28:29], -v[127:128]
	v_add_f64 v[143:144], v[143:144], v[161:162]
	v_mul_f64 v[161:162], v[47:48], s[24:25]
	v_add_f64 v[151:152], v[151:152], v[19:20]
	v_add_f64 v[149:150], v[149:150], v[201:202]
	;; [unrolled: 1-line block ×3, first 2 shown]
	v_fma_f64 v[19:20], v[73:74], s[20:21], v[171:172]
	v_mul_f64 v[177:178], v[75:76], s[60:61]
	v_add_f64 v[155:156], v[163:164], v[155:156]
	v_mul_f64 v[163:164], v[45:46], s[22:23]
	v_fma_f64 v[179:180], v[43:44], s[52:53], v[137:138]
	v_add_f64 v[153:154], v[129:130], v[153:154]
	v_mul_f64 v[131:132], v[41:42], s[56:57]
	v_add_f64 v[157:158], v[157:158], v[165:166]
	v_fma_f64 v[165:166], v[25:26], s[60:61], v[169:170]
	v_mul_f64 v[129:130], v[39:40], s[62:63]
	v_fma_f64 v[137:138], v[43:44], s[52:53], -v[137:138]
	v_fma_f64 v[169:170], v[25:26], s[50:51], v[169:170]
	v_add_f64 v[143:144], v[173:174], v[143:144]
	v_add_f64 v[127:128], v[127:128], v[151:152]
	v_fma_f64 v[151:152], v[73:74], s[46:47], v[171:172]
	v_add_f64 v[149:150], v[19:20], v[149:150]
	v_add_f64 v[19:20], v[125:126], v[175:176]
	v_fma_f64 v[125:126], v[57:58], s[52:53], v[177:178]
	v_add_f64 v[155:156], v[159:160], v[155:156]
	v_fma_f64 v[159:160], v[23:24], s[22:23], v[161:162]
	;; [unrolled: 2-line block ×3, first 2 shown]
	v_fma_f64 v[175:176], v[21:22], s[44:45], v[17:18]
	v_add_f64 v[157:158], v[165:166], v[157:158]
	v_mul_f64 v[165:166], v[71:72], s[52:53]
	v_fma_f64 v[161:162], v[23:24], s[22:23], -v[161:162]
	v_fma_f64 v[171:172], v[57:58], s[52:53], -v[177:178]
	v_mul_f64 v[177:178], v[101:102], s[64:65]
	v_fma_f64 v[163:164], v[37:38], s[24:25], v[163:164]
	v_mul_f64 v[179:180], v[63:64], s[36:37]
	v_add_f64 v[167:168], v[167:168], v[19:20]
	v_add_f64 v[125:126], v[125:126], v[143:144]
	v_mul_f64 v[143:144], v[65:66], s[26:27]
	v_fma_f64 v[19:20], v[33:34], s[62:63], v[131:132]
	v_add_f64 v[153:154], v[159:160], v[153:154]
	v_fma_f64 v[159:160], v[35:36], s[64:65], v[129:130]
	v_add_f64 v[137:138], v[137:138], v[155:156]
	v_add_f64 v[157:158], v[173:174], v[157:158]
	v_fma_f64 v[173:174], v[59:60], s[50:51], v[165:166]
	v_mul_f64 v[155:156], v[55:56], s[16:17]
	v_add_f64 v[127:128], v[171:172], v[127:128]
	v_mul_f64 v[171:172], v[99:100], s[62:63]
	v_fma_f64 v[131:132], v[33:34], s[62:63], -v[131:132]
	v_fma_f64 v[129:130], v[35:36], s[56:57], v[129:130]
	v_add_f64 v[167:168], v[169:170], v[167:168]
	v_mul_f64 v[169:170], v[47:48], s[58:59]
	v_add_f64 v[17:18], v[19:20], v[153:154]
	v_fma_f64 v[153:154], v[27:28], s[16:17], v[143:144]
	v_add_f64 v[137:138], v[161:162], v[137:138]
	v_add_f64 v[19:20], v[159:160], v[157:158]
	;; [unrolled: 1-line block ×3, first 2 shown]
	v_fma_f64 v[157:158], v[49:50], s[38:39], v[155:156]
	v_add_f64 v[159:160], v[175:176], v[203:204]
	v_mul_f64 v[173:174], v[53:54], s[56:57]
	v_mul_f64 v[175:176], v[51:52], s[62:63]
	;; [unrolled: 1-line block ×3, first 2 shown]
	v_fma_f64 v[143:144], v[27:28], s[16:17], -v[143:144]
	v_fma_f64 v[155:156], v[49:50], s[26:27], v[155:156]
	v_add_f64 v[125:126], v[153:154], v[125:126]
	v_add_f64 v[149:150], v[157:158], v[149:150]
	;; [unrolled: 1-line block ×3, first 2 shown]
	v_fma_f64 v[153:154], v[43:44], s[62:63], v[173:174]
	v_fma_f64 v[157:158], v[25:26], s[64:65], v[175:176]
	;; [unrolled: 1-line block ×4, first 2 shown]
	v_add_f64 v[143:144], v[143:144], v[127:128]
	v_fma_f64 v[173:174], v[43:44], s[62:63], -v[173:174]
	v_add_f64 v[153:154], v[153:154], v[125:126]
	v_add_f64 v[149:150], v[157:158], v[149:150]
	v_fma_f64 v[157:158], v[23:24], s[40:41], v[169:170]
	v_add_f64 v[151:152], v[159:160], v[151:152]
	v_fma_f64 v[159:160], v[37:38], s[18:19], v[161:162]
	;; [unrolled: 2-line block ×3, first 2 shown]
	v_mul_f64 v[167:168], v[61:62], s[30:31]
	v_fma_f64 v[171:172], v[21:22], s[64:65], v[171:172]
	v_add_f64 v[143:144], v[173:174], v[143:144]
	v_fma_f64 v[173:174], v[25:26], s[56:57], v[175:176]
	v_mul_f64 v[175:176], v[51:52], s[22:23]
	v_fma_f64 v[169:170], v[23:24], s[40:41], -v[169:170]
	v_fma_f64 v[161:162], v[37:38], s[58:59], v[161:162]
	v_add_f64 v[153:154], v[157:158], v[153:154]
	v_add_f64 v[157:158], v[165:166], v[205:206]
	v_fma_f64 v[165:166], v[69:70], s[30:31], v[179:180]
	v_add_f64 v[127:128], v[159:160], v[149:150]
	v_add_f64 v[149:150], v[163:164], v[181:182]
	v_fma_f64 v[159:160], v[73:74], s[34:35], v[167:168]
	v_fma_f64 v[163:164], v[57:58], s[16:17], v[183:184]
	v_add_f64 v[151:152], v[155:156], v[151:152]
	v_fma_f64 v[155:156], v[67:68], s[62:63], -v[177:178]
	v_mul_f64 v[177:178], v[65:66], s[44:45]
	v_add_f64 v[171:172], v[171:172], v[209:210]
	v_fma_f64 v[179:180], v[69:70], s[30:31], -v[179:180]
	v_fma_f64 v[167:168], v[73:74], s[36:37], v[167:168]
	v_add_f64 v[169:170], v[169:170], v[143:144]
	v_add_f64 v[157:158], v[165:166], v[157:158]
	v_mul_f64 v[165:166], v[71:72], s[16:17]
	v_add_f64 v[149:150], v[159:160], v[149:150]
	v_add_f64 v[151:152], v[173:174], v[151:152]
	;; [unrolled: 1-line block ×3, first 2 shown]
	v_fma_f64 v[181:182], v[27:28], s[48:49], v[177:178]
	v_mul_f64 v[173:174], v[101:102], s[46:47]
	v_add_f64 v[167:168], v[167:168], v[171:172]
	v_fma_f64 v[171:172], v[57:58], s[16:17], -v[183:184]
	v_mul_f64 v[183:184], v[99:100], s[28:29]
	v_add_f64 v[157:158], v[163:164], v[157:158]
	v_fma_f64 v[159:160], v[59:60], s[38:39], v[165:166]
	v_mul_f64 v[163:164], v[55:56], s[48:49]
	v_fma_f64 v[165:166], v[59:60], s[26:27], v[165:166]
	v_add_f64 v[143:144], v[161:162], v[151:152]
	v_add_f64 v[155:156], v[179:180], v[155:156]
	v_mul_f64 v[179:180], v[47:48], s[50:51]
	v_fma_f64 v[151:152], v[67:68], s[28:29], v[173:174]
	v_mul_f64 v[161:162], v[63:64], s[50:51]
	v_fma_f64 v[173:174], v[67:68], s[28:29], -v[173:174]
	v_add_f64 v[157:158], v[181:182], v[157:158]
	v_add_f64 v[149:150], v[159:160], v[149:150]
	v_fma_f64 v[159:160], v[49:50], s[54:55], v[163:164]
	v_fma_f64 v[181:182], v[43:44], s[22:23], v[185:186]
	v_add_f64 v[165:166], v[165:166], v[167:168]
	v_fma_f64 v[167:168], v[27:28], s[48:49], -v[177:178]
	v_add_f64 v[155:156], v[171:172], v[155:156]
	v_fma_f64 v[171:172], v[23:24], s[52:53], v[179:180]
	v_fma_f64 v[163:164], v[49:50], s[44:45], v[163:164]
	v_mul_f64 v[177:178], v[61:62], s[52:53]
	v_add_f64 v[139:140], v[151:152], v[139:140]
	v_fma_f64 v[151:152], v[69:70], s[52:53], v[161:162]
	v_fma_f64 v[185:186], v[43:44], s[22:23], -v[185:186]
	v_fma_f64 v[179:180], v[23:24], s[52:53], -v[179:180]
	v_add_f64 v[135:136], v[173:174], v[135:136]
	v_fma_f64 v[161:162], v[69:70], s[52:53], -v[161:162]
	v_add_f64 v[149:150], v[159:160], v[149:150]
	v_fma_f64 v[159:160], v[25:26], s[24:25], v[175:176]
	v_add_f64 v[157:158], v[181:182], v[157:158]
	v_mul_f64 v[181:182], v[45:46], s[52:53]
	v_add_f64 v[155:156], v[167:168], v[155:156]
	v_mul_f64 v[167:168], v[71:72], s[62:63]
	;; [unrolled: 2-line block ×3, first 2 shown]
	v_fma_f64 v[175:176], v[25:26], s[42:43], v[175:176]
	v_add_f64 v[139:140], v[151:152], v[139:140]
	v_add_f64 v[135:136], v[161:162], v[135:136]
	;; [unrolled: 1-line block ×3, first 2 shown]
	v_fma_f64 v[159:160], v[21:22], s[20:21], v[183:184]
	v_add_f64 v[157:158], v[171:172], v[157:158]
	v_fma_f64 v[171:172], v[37:38], s[60:61], v[181:182]
	v_fma_f64 v[183:184], v[21:22], s[46:47], v[183:184]
	v_add_f64 v[155:156], v[185:186], v[155:156]
	v_fma_f64 v[151:152], v[57:58], s[62:63], v[165:166]
	v_mul_f64 v[185:186], v[55:56], s[22:23]
	v_add_f64 v[163:164], v[175:176], v[163:164]
	v_mul_f64 v[175:176], v[47:48], s[44:45]
	v_fma_f64 v[161:162], v[57:58], s[62:63], -v[165:166]
	v_mul_f64 v[165:166], v[45:46], s[48:49]
	v_add_f64 v[141:142], v[159:160], v[141:142]
	v_fma_f64 v[159:160], v[73:74], s[60:61], v[177:178]
	v_add_f64 v[149:150], v[171:172], v[149:150]
	v_mul_f64 v[171:172], v[65:66], s[42:43]
	v_add_f64 v[133:134], v[183:184], v[133:134]
	v_add_f64 v[139:140], v[151:152], v[139:140]
	v_fma_f64 v[177:178], v[73:74], s[50:51], v[177:178]
	v_fma_f64 v[173:174], v[49:50], s[24:25], v[185:186]
	v_mul_f64 v[183:184], v[51:52], s[30:31]
	v_add_f64 v[155:156], v[179:180], v[155:156]
	v_mul_f64 v[179:180], v[101:102], s[38:39]
	v_mul_f64 v[101:102], v[101:102], s[60:61]
	v_add_f64 v[135:136], v[161:162], v[135:136]
	v_fma_f64 v[161:162], v[37:38], s[54:55], v[165:166]
	v_fma_f64 v[185:186], v[49:50], s[42:43], v[185:186]
	v_add_f64 v[141:142], v[159:160], v[141:142]
	v_fma_f64 v[159:160], v[59:60], s[64:65], v[167:168]
	v_fma_f64 v[151:152], v[27:28], s[22:23], v[171:172]
	;; [unrolled: 1-line block ×3, first 2 shown]
	v_add_f64 v[133:134], v[177:178], v[133:134]
	v_fma_f64 v[177:178], v[23:24], s[48:49], v[175:176]
	v_add_f64 v[141:142], v[159:160], v[141:142]
	v_mul_f64 v[159:160], v[53:54], s[34:35]
	v_add_f64 v[139:140], v[151:152], v[139:140]
	v_add_f64 v[133:134], v[167:168], v[133:134]
	v_fma_f64 v[167:168], v[27:28], s[22:23], -v[171:172]
	v_add_f64 v[141:142], v[173:174], v[141:142]
	v_fma_f64 v[151:152], v[43:44], s[30:31], v[159:160]
	v_fma_f64 v[173:174], v[25:26], s[36:37], v[183:184]
	v_fma_f64 v[159:160], v[43:44], s[30:31], -v[159:160]
	v_add_f64 v[133:134], v[185:186], v[133:134]
	v_add_f64 v[135:136], v[167:168], v[135:136]
	v_mul_f64 v[167:168], v[75:76], s[58:59]
	v_mul_f64 v[185:186], v[41:42], s[36:37]
	;; [unrolled: 1-line block ×3, first 2 shown]
	v_add_f64 v[139:140], v[151:152], v[139:140]
	v_fma_f64 v[151:152], v[37:38], s[50:51], v[181:182]
	v_mul_f64 v[181:182], v[99:100], s[16:17]
	v_mul_f64 v[99:100], v[99:100], s[52:53]
	v_add_f64 v[141:142], v[173:174], v[141:142]
	v_mul_f64 v[173:174], v[63:64], s[24:25]
	v_mul_f64 v[63:64], v[63:64], s[56:57]
	v_add_f64 v[135:136], v[159:160], v[135:136]
	v_fma_f64 v[159:160], v[33:34], s[30:31], v[185:186]
	v_add_f64 v[139:140], v[177:178], v[139:140]
	v_add_f64 v[151:152], v[151:152], v[163:164]
	v_fma_f64 v[163:164], v[67:68], s[16:17], v[179:180]
	v_fma_f64 v[171:172], v[21:22], s[26:27], v[181:182]
	v_mul_f64 v[177:178], v[61:62], s[22:23]
	v_fma_f64 v[179:180], v[67:68], s[16:17], -v[179:180]
	v_mul_f64 v[61:62], v[61:62], s[62:63]
	v_fma_f64 v[181:182], v[21:22], s[38:39], v[181:182]
	v_add_f64 v[141:142], v[161:162], v[141:142]
	v_fma_f64 v[161:162], v[69:70], s[22:23], v[173:174]
	v_fma_f64 v[173:174], v[69:70], s[22:23], -v[173:174]
	v_add_f64 v[121:122], v[163:164], v[121:122]
	v_add_f64 v[123:124], v[171:172], v[123:124]
	v_fma_f64 v[163:164], v[73:74], s[42:43], v[177:178]
	v_mul_f64 v[171:172], v[71:72], s[40:41]
	v_add_f64 v[119:120], v[179:180], v[119:120]
	v_fma_f64 v[179:180], v[67:68], s[52:53], v[101:102]
	v_fma_f64 v[101:102], v[67:68], s[52:53], -v[101:102]
	v_fma_f64 v[67:68], v[67:68], s[30:31], -v[97:98]
	v_fma_f64 v[97:98], v[21:22], s[50:51], v[99:100]
	v_fma_f64 v[99:100], v[21:22], s[60:61], v[99:100]
	;; [unrolled: 1-line block ×3, first 2 shown]
	v_add_f64 v[21:22], v[131:132], v[137:138]
	v_fma_f64 v[131:132], v[73:74], s[64:65], v[61:62]
	v_mul_f64 v[71:72], v[71:72], s[30:31]
	v_fma_f64 v[61:62], v[73:74], s[56:57], v[61:62]
	v_fma_f64 v[73:74], v[73:74], s[26:27], v[83:84]
	v_add_f64 v[117:118], v[181:182], v[117:118]
	v_fma_f64 v[137:138], v[33:34], s[30:31], -v[185:186]
	v_add_f64 v[121:122], v[161:162], v[121:122]
	v_fma_f64 v[161:162], v[57:58], s[40:41], v[167:168]
	v_add_f64 v[123:124], v[163:164], v[123:124]
	v_fma_f64 v[163:164], v[59:60], s[18:19], v[171:172]
	v_add_f64 v[119:120], v[173:174], v[119:120]
	v_add_f64 v[115:116], v[179:180], v[115:116]
	;; [unrolled: 1-line block ×3, first 2 shown]
	v_fma_f64 v[111:112], v[69:70], s[62:63], v[63:64]
	v_add_f64 v[97:98], v[97:98], v[113:114]
	v_add_f64 v[99:100], v[99:100], v[109:110]
	v_mul_f64 v[109:110], v[55:56], s[52:53]
	v_add_f64 v[67:68], v[67:68], v[31:32]
	v_fma_f64 v[63:64], v[69:70], s[62:63], -v[63:64]
	v_fma_f64 v[69:70], v[69:70], s[16:17], -v[81:82]
	v_mul_f64 v[113:114], v[65:66], s[50:51]
	v_fma_f64 v[167:168], v[57:58], s[40:41], -v[167:168]
	v_fma_f64 v[171:172], v[59:60], s[58:59], v[171:172]
	v_mul_f64 v[65:66], v[65:66], s[18:19]
	v_mul_f64 v[55:56], v[55:56], s[40:41]
	v_add_f64 v[29:30], v[73:74], v[29:30]
	v_add_f64 v[117:118], v[177:178], v[117:118]
	;; [unrolled: 1-line block ×3, first 2 shown]
	v_mul_f64 v[73:74], v[51:52], s[48:49]
	v_add_f64 v[121:122], v[161:162], v[121:122]
	v_mul_f64 v[161:162], v[39:40], s[30:31]
	v_add_f64 v[123:124], v[163:164], v[123:124]
	v_mul_f64 v[163:164], v[41:42], s[18:19]
	v_mul_f64 v[51:52], v[51:52], s[16:17]
	;; [unrolled: 1-line block ×3, first 2 shown]
	v_add_f64 v[111:112], v[111:112], v[115:116]
	v_add_f64 v[97:98], v[131:132], v[97:98]
	v_fma_f64 v[131:132], v[57:58], s[30:31], v[75:76]
	v_fma_f64 v[115:116], v[49:50], s[60:61], v[109:110]
	v_fma_f64 v[75:76], v[57:58], s[30:31], -v[75:76]
	v_add_f64 v[63:64], v[63:64], v[101:102]
	v_fma_f64 v[101:102], v[59:60], s[34:35], v[71:72]
	v_fma_f64 v[71:72], v[59:60], s[36:37], v[71:72]
	v_add_f64 v[67:68], v[69:70], v[67:68]
	v_fma_f64 v[57:58], v[57:58], s[22:23], -v[77:78]
	v_fma_f64 v[59:60], v[59:60], s[24:25], v[79:80]
	v_add_f64 v[61:62], v[61:62], v[99:100]
	v_mul_f64 v[69:70], v[53:54], s[44:45]
	v_add_f64 v[119:120], v[167:168], v[119:120]
	v_fma_f64 v[109:110], v[49:50], s[50:51], v[109:110]
	v_mul_f64 v[53:54], v[53:54], s[38:39]
	v_add_f64 v[117:118], v[171:172], v[117:118]
	v_fma_f64 v[87:88], v[35:36], s[34:35], v[161:162]
	v_fma_f64 v[153:154], v[35:36], s[36:37], v[161:162]
	;; [unrolled: 1-line block ×3, first 2 shown]
	v_fma_f64 v[159:160], v[33:34], s[40:41], -v[163:164]
	v_fma_f64 v[163:164], v[27:28], s[52:53], v[113:114]
	v_fma_f64 v[113:114], v[27:28], s[52:53], -v[113:114]
	v_fma_f64 v[161:162], v[25:26], s[34:35], v[183:184]
	v_add_f64 v[111:112], v[131:132], v[111:112]
	v_add_f64 v[115:116], v[115:116], v[123:124]
	v_fma_f64 v[123:124], v[49:50], s[58:59], v[55:56]
	v_fma_f64 v[55:56], v[49:50], s[18:19], v[55:56]
	v_add_f64 v[97:98], v[101:102], v[97:98]
	v_fma_f64 v[101:102], v[27:28], s[40:41], v[65:66]
	v_fma_f64 v[65:66], v[27:28], s[40:41], -v[65:66]
	v_add_f64 v[57:58], v[57:58], v[67:68]
	v_add_f64 v[29:30], v[59:60], v[29:30]
	v_fma_f64 v[27:28], v[27:28], s[28:29], -v[85:86]
	v_fma_f64 v[49:50], v[49:50], s[20:21], v[103:104]
	v_add_f64 v[63:64], v[75:76], v[63:64]
	v_add_f64 v[61:62], v[71:72], v[61:62]
	v_fma_f64 v[71:72], v[43:44], s[48:49], v[69:70]
	v_fma_f64 v[75:76], v[25:26], s[54:55], v[73:74]
	v_mul_f64 v[131:132], v[47:48], s[36:37]
	v_mul_f64 v[85:86], v[45:46], s[30:31]
	v_fma_f64 v[69:70], v[43:44], s[48:49], -v[69:70]
	v_fma_f64 v[73:74], v[25:26], s[44:45], v[73:74]
	v_add_f64 v[121:122], v[163:164], v[121:122]
	v_add_f64 v[103:104], v[113:114], v[119:120]
	v_fma_f64 v[113:114], v[25:26], s[26:27], v[51:52]
	v_mul_f64 v[47:48], v[47:48], s[20:21]
	v_mul_f64 v[45:46], v[45:46], s[28:29]
	v_fma_f64 v[51:52], v[25:26], s[38:39], v[51:52]
	v_fma_f64 v[25:26], v[25:26], s[18:19], v[91:92]
	v_add_f64 v[97:98], v[123:124], v[97:98]
	v_add_f64 v[101:102], v[101:102], v[111:112]
	v_fma_f64 v[111:112], v[43:44], s[16:17], v[53:54]
	v_fma_f64 v[53:54], v[43:44], s[16:17], -v[53:54]
	v_fma_f64 v[43:44], v[43:44], s[40:41], -v[89:90]
	v_add_f64 v[27:28], v[27:28], v[57:58]
	v_add_f64 v[29:30], v[49:50], v[29:30]
	;; [unrolled: 1-line block ×5, first 2 shown]
	v_mul_f64 v[99:100], v[41:42], s[38:39]
	v_mul_f64 v[77:78], v[39:40], s[16:17]
	v_add_f64 v[79:80], v[161:162], v[133:134]
	v_fma_f64 v[59:60], v[23:24], s[48:49], -v[175:176]
	v_fma_f64 v[67:68], v[37:38], s[44:45], v[165:166]
	v_add_f64 v[61:62], v[71:72], v[121:122]
	v_add_f64 v[65:66], v[75:76], v[115:116]
	v_fma_f64 v[71:72], v[23:24], s[30:31], v[131:132]
	v_fma_f64 v[49:50], v[37:38], s[34:35], v[85:86]
	v_mul_f64 v[57:58], v[41:42], s[20:21]
	v_mul_f64 v[75:76], v[39:40], s[28:29]
	v_add_f64 v[69:70], v[69:70], v[103:104]
	v_fma_f64 v[89:90], v[23:24], s[30:31], -v[131:132]
	v_add_f64 v[97:98], v[113:114], v[97:98]
	v_add_f64 v[91:92], v[111:112], v[101:102]
	v_fma_f64 v[101:102], v[23:24], s[28:29], v[47:48]
	v_fma_f64 v[103:104], v[37:38], s[46:47], v[45:46]
	v_fma_f64 v[47:48], v[23:24], s[28:29], -v[47:48]
	v_add_f64 v[27:28], v[43:44], v[27:28]
	v_add_f64 v[25:26], v[25:26], v[29:30]
	v_fma_f64 v[23:24], v[23:24], s[62:63], -v[93:94]
	v_fma_f64 v[29:30], v[37:38], s[56:57], v[95:96]
	v_add_f64 v[73:74], v[73:74], v[109:110]
	v_fma_f64 v[85:86], v[37:38], s[36:37], v[85:86]
	v_mul_f64 v[41:42], v[41:42], s[42:43]
	v_mul_f64 v[39:40], v[39:40], s[22:23]
	v_add_f64 v[53:54], v[53:54], v[63:64]
	v_add_f64 v[51:52], v[51:52], v[55:56]
	v_fma_f64 v[45:46], v[37:38], s[20:21], v[45:46]
	v_fma_f64 v[83:84], v[35:36], s[58:59], v[173:174]
	;; [unrolled: 1-line block ×4, first 2 shown]
	v_add_f64 v[67:68], v[67:68], v[79:80]
	v_add_f64 v[61:62], v[71:72], v[61:62]
	;; [unrolled: 1-line block ×3, first 2 shown]
	v_fma_f64 v[65:66], v[33:34], s[28:29], v[57:58]
	v_fma_f64 v[71:72], v[35:36], s[46:47], v[75:76]
	v_add_f64 v[69:70], v[89:90], v[69:70]
	v_fma_f64 v[57:58], v[33:34], s[28:29], -v[57:58]
	v_add_f64 v[89:90], v[103:104], v[97:98]
	v_fma_f64 v[77:78], v[35:36], s[38:39], v[77:78]
	v_add_f64 v[59:60], v[59:60], v[135:136]
	v_add_f64 v[103:104], v[23:24], v[27:28]
	;; [unrolled: 1-line block ×3, first 2 shown]
	v_fma_f64 v[79:80], v[33:34], s[16:17], -v[99:100]
	v_add_f64 v[73:74], v[85:86], v[73:74]
	v_add_f64 v[85:86], v[101:102], v[91:92]
	v_fma_f64 v[91:92], v[33:34], s[22:23], v[41:42]
	v_fma_f64 v[93:94], v[35:36], s[24:25], v[39:40]
	v_add_f64 v[95:96], v[47:48], v[53:54]
	v_add_f64 v[97:98], v[45:46], v[51:52]
	v_fma_f64 v[41:42], v[33:34], s[22:23], -v[41:42]
	v_fma_f64 v[99:100], v[35:36], s[42:43], v[39:40]
	v_fma_f64 v[75:76], v[35:36], s[20:21], v[75:76]
	v_fma_f64 v[101:102], v[35:36], s[18:19], v[173:174]
	v_add_f64 v[33:34], v[87:88], v[127:128]
	v_add_f64 v[35:36], v[81:82], v[157:158]
	;; [unrolled: 1-line block ×22, first 2 shown]
	v_mad_u32_u24 v29, 0x110, v147, v148
	ds_write_b128 v29, v[5:8]
	ds_write_b128 v29, v[1:4] offset:16
	ds_write_b128 v29, v[13:16] offset:32
	;; [unrolled: 1-line block ×15, first 2 shown]
	v_lshlrev_b32_e32 v1, 8, v147
	ds_write_b128 v29, v[67:70] offset:256
	s_waitcnt lgkmcnt(0)
	s_barrier
	buffer_gl0_inv
	s_clause 0xf
	global_load_dwordx4 v[37:40], v1, s[12:13]
	global_load_dwordx4 v[45:48], v1, s[12:13] offset:16
	global_load_dwordx4 v[53:56], v1, s[12:13] offset:32
	;; [unrolled: 1-line block ×15, first 2 shown]
	ds_read_b128 v[49:52], v145 offset:272
	ds_read_b128 v[65:68], v145 offset:544
	;; [unrolled: 1-line block ×5, first 2 shown]
	ds_read_b128 v[1:4], v146
	ds_read_b128 v[99:102], v145 offset:1360
	ds_read_b128 v[123:126], v145 offset:1632
	;; [unrolled: 1-line block ×4, first 2 shown]
	s_waitcnt vmcnt(15) lgkmcnt(9)
	v_mul_f64 v[41:42], v[51:52], v[39:40]
	v_mul_f64 v[39:40], v[49:50], v[39:40]
	s_waitcnt vmcnt(14) lgkmcnt(8)
	v_mul_f64 v[85:86], v[67:68], v[47:48]
	v_mul_f64 v[47:48], v[65:66], v[47:48]
	s_waitcnt vmcnt(13) lgkmcnt(7)
	v_mul_f64 v[87:88], v[71:72], v[55:56]
	s_waitcnt vmcnt(12) lgkmcnt(6)
	;; [unrolled: 2-line block ×4, first 2 shown]
	v_mul_f64 v[113:114], v[101:102], v[79:80]
	v_mul_f64 v[55:56], v[69:70], v[55:56]
	;; [unrolled: 1-line block ×4, first 2 shown]
	s_waitcnt vmcnt(9) lgkmcnt(2)
	v_mul_f64 v[131:132], v[125:126], v[105:106]
	v_mul_f64 v[105:106], v[123:124], v[105:106]
	s_waitcnt vmcnt(8) lgkmcnt(1)
	v_mul_f64 v[135:136], v[129:130], v[117:118]
	v_mul_f64 v[117:118], v[127:128], v[117:118]
	v_fma_f64 v[97:98], v[49:50], v[37:38], v[41:42]
	v_fma_f64 v[133:134], v[51:52], v[37:38], -v[39:40]
	ds_read_b128 v[41:44], v145 offset:4080
	ds_read_b128 v[49:52], v145 offset:2448
	v_fma_f64 v[93:94], v[65:66], v[45:46], v[85:86]
	v_fma_f64 v[95:96], v[67:68], v[45:46], -v[47:48]
	v_fma_f64 v[85:86], v[69:70], v[53:54], v[87:88]
	v_fma_f64 v[81:82], v[81:82], v[57:58], v[91:92]
	v_fma_f64 v[69:70], v[121:122], v[73:74], -v[107:108]
	v_mul_f64 v[91:92], v[121:122], v[75:76]
	s_waitcnt vmcnt(7) lgkmcnt(2)
	v_mul_f64 v[121:122], v[63:64], v[35:36]
	v_fma_f64 v[75:76], v[99:100], v[77:78], v[113:114]
	v_fma_f64 v[89:90], v[71:72], v[53:54], -v[55:56]
	v_fma_f64 v[87:88], v[83:84], v[57:58], -v[59:60]
	v_mul_f64 v[99:100], v[61:62], v[35:36]
	v_fma_f64 v[83:84], v[101:102], v[77:78], -v[79:80]
	ds_read_b128 v[65:68], v145 offset:2720
	ds_read_b128 v[45:48], v145 offset:2992
	;; [unrolled: 1-line block ×3, first 2 shown]
	v_fma_f64 v[71:72], v[123:124], v[103:104], v[131:132]
	v_fma_f64 v[79:80], v[125:126], v[103:104], -v[105:106]
	ds_read_b128 v[53:56], v145 offset:3264
	ds_read_b128 v[57:60], v145 offset:3536
	v_add_f64 v[111:112], v[1:2], v[97:98]
	s_waitcnt vmcnt(6) lgkmcnt(6)
	v_mul_f64 v[109:110], v[41:42], v[23:24]
	v_add_f64 v[113:114], v[3:4], v[133:134]
	s_waitcnt vmcnt(5) lgkmcnt(5)
	v_mul_f64 v[101:102], v[51:52], v[31:32]
	v_mul_f64 v[35:36], v[49:50], v[31:32]
	;; [unrolled: 1-line block ×3, first 2 shown]
	v_fma_f64 v[77:78], v[127:128], v[115:116], v[135:136]
	s_waitcnt vmcnt(0) lgkmcnt(0)
	v_add_f64 v[31:32], v[133:134], -v[69:70]
	s_barrier
	v_fma_f64 v[61:62], v[61:62], v[33:34], v[121:122]
	buffer_gl0_inv
	v_mul_f64 v[103:104], v[67:68], v[27:28]
	v_mul_f64 v[105:106], v[65:66], v[27:28]
	;; [unrolled: 1-line block ×3, first 2 shown]
	v_fma_f64 v[27:28], v[119:120], v[73:74], v[91:92]
	v_add_f64 v[91:92], v[133:134], v[69:70]
	v_fma_f64 v[99:100], v[63:64], v[33:34], -v[99:100]
	v_mul_f64 v[63:64], v[37:38], v[7:8]
	v_fma_f64 v[73:74], v[129:130], v[115:116], -v[117:118]
	v_mul_f64 v[19:20], v[45:46], v[19:20]
	v_add_f64 v[111:112], v[111:112], v[93:94]
	v_fma_f64 v[121:122], v[43:44], v[21:22], -v[109:110]
	v_add_f64 v[43:44], v[113:114], v[95:96]
	v_fma_f64 v[123:124], v[49:50], v[29:30], v[101:102]
	v_fma_f64 v[125:126], v[51:52], v[29:30], -v[35:36]
	v_mul_f64 v[29:30], v[39:40], v[7:8]
	v_fma_f64 v[7:8], v[41:42], v[21:22], v[23:24]
	v_mul_f64 v[33:34], v[55:56], v[15:16]
	v_mul_f64 v[15:16], v[53:54], v[15:16]
	;; [unrolled: 1-line block ×6, first 2 shown]
	v_fma_f64 v[127:128], v[65:66], v[25:26], v[103:104]
	v_fma_f64 v[129:130], v[67:68], v[25:26], -v[105:106]
	v_fma_f64 v[131:132], v[45:46], v[17:18], v[107:108]
	v_mul_f64 v[25:26], v[31:32], s[50:51]
	v_add_f64 v[65:66], v[97:98], v[27:28]
	v_mul_f64 v[67:68], v[91:92], s[52:53]
	v_add_f64 v[97:98], v[97:98], -v[27:28]
	v_fma_f64 v[133:134], v[39:40], v[5:6], -v[63:64]
	v_fma_f64 v[17:18], v[47:48], v[17:18], -v[19:20]
	v_add_f64 v[21:22], v[111:112], v[85:86]
	v_add_f64 v[51:52], v[95:96], -v[121:122]
	v_add_f64 v[23:24], v[43:44], v[89:90]
	v_add_f64 v[45:46], v[95:96], v[121:122]
	v_mul_f64 v[39:40], v[31:32], s[26:27]
	v_fma_f64 v[5:6], v[37:38], v[5:6], v[29:30]
	v_mul_f64 v[37:38], v[31:32], s[18:19]
	v_fma_f64 v[19:20], v[53:54], v[13:14], v[33:34]
	v_fma_f64 v[13:14], v[55:56], v[13:14], -v[15:16]
	v_fma_f64 v[15:16], v[57:58], v[9:10], v[49:50]
	v_fma_f64 v[9:10], v[59:60], v[9:10], -v[11:12]
	v_mul_f64 v[11:12], v[31:32], s[20:21]
	v_mul_f64 v[43:44], v[31:32], s[56:57]
	;; [unrolled: 1-line block ×3, first 2 shown]
	v_add_f64 v[29:30], v[93:94], -v[7:8]
	v_mul_f64 v[109:110], v[91:92], s[16:17]
	v_mul_f64 v[111:112], v[91:92], s[22:23]
	v_fma_f64 v[31:32], v[65:66], s[52:53], v[25:26]
	v_fma_f64 v[53:54], v[65:66], s[52:53], -v[25:26]
	v_fma_f64 v[49:50], v[97:98], s[60:61], v[67:68]
	v_add_f64 v[25:26], v[93:94], v[7:8]
	v_add_f64 v[59:60], v[89:90], -v[133:134]
	v_add_f64 v[21:22], v[21:22], v[81:82]
	v_mul_f64 v[57:58], v[51:52], s[34:35]
	v_add_f64 v[23:24], v[23:24], v[87:88]
	v_mul_f64 v[63:64], v[45:46], s[30:31]
	v_add_f64 v[33:34], v[89:90], v[133:134]
	v_fma_f64 v[55:56], v[65:66], s[30:31], v[35:36]
	v_fma_f64 v[93:94], v[65:66], s[30:31], -v[35:36]
	v_fma_f64 v[95:96], v[65:66], s[16:17], v[39:40]
	v_fma_f64 v[89:90], v[65:66], s[16:17], -v[39:40]
	;; [unrolled: 2-line block ×5, first 2 shown]
	v_fma_f64 v[137:138], v[65:66], s[62:63], v[43:44]
	v_mul_f64 v[41:42], v[91:92], s[30:31]
	v_mul_f64 v[113:114], v[91:92], s[28:29]
	v_add_f64 v[115:116], v[1:2], v[31:32]
	v_add_f64 v[49:50], v[3:4], v[49:50]
	;; [unrolled: 1-line block ×3, first 2 shown]
	v_mul_f64 v[139:140], v[59:60], s[26:27]
	v_add_f64 v[21:22], v[21:22], v[75:76]
	v_fma_f64 v[117:118], v[25:26], s[30:31], v[57:58]
	v_add_f64 v[23:24], v[23:24], v[83:84]
	v_fma_f64 v[119:120], v[29:30], s[36:37], v[63:64]
	v_add_f64 v[35:36], v[85:86], -v[5:6]
	v_mul_f64 v[85:86], v[33:34], s[16:17]
	v_fma_f64 v[141:142], v[65:66], s[62:63], -v[43:44]
	v_add_f64 v[37:38], v[87:88], -v[9:10]
	v_fma_f64 v[143:144], v[65:66], s[48:49], v[47:48]
	v_add_f64 v[39:40], v[87:88], v[9:10]
	v_fma_f64 v[146:147], v[65:66], s[48:49], -v[47:48]
	v_mul_f64 v[65:66], v[91:92], s[40:41]
	v_mul_f64 v[87:88], v[91:92], s[62:63]
	;; [unrolled: 1-line block ×3, first 2 shown]
	v_fma_f64 v[67:68], v[97:98], s[50:51], v[67:68]
	v_add_f64 v[43:44], v[81:82], -v[15:16]
	v_fma_f64 v[148:149], v[97:98], s[36:37], v[41:42]
	v_fma_f64 v[150:151], v[97:98], s[34:35], v[41:42]
	v_add_f64 v[41:42], v[81:82], v[15:16]
	v_add_f64 v[47:48], v[83:84], -v[13:14]
	v_fma_f64 v[152:153], v[97:98], s[38:39], v[109:110]
	v_fma_f64 v[109:110], v[97:98], s[26:27], v[109:110]
	v_add_f64 v[21:22], v[21:22], v[71:72]
	v_add_f64 v[115:116], v[117:118], v[115:116]
	;; [unrolled: 1-line block ×4, first 2 shown]
	v_fma_f64 v[119:120], v[31:32], s[16:17], v[139:140]
	v_fma_f64 v[158:159], v[35:36], s[38:39], v[85:86]
	v_add_f64 v[49:50], v[83:84], v[13:14]
	v_mul_f64 v[160:161], v[37:38], s[24:25]
	v_fma_f64 v[154:155], v[97:98], s[42:43], v[111:112]
	v_mul_f64 v[81:82], v[39:40], s[22:23]
	v_fma_f64 v[111:112], v[97:98], s[24:25], v[111:112]
	v_fma_f64 v[162:163], v[97:98], s[58:59], v[65:66]
	;; [unrolled: 1-line block ×5, first 2 shown]
	v_add_f64 v[65:66], v[1:2], v[53:54]
	v_fma_f64 v[91:92], v[25:26], s[30:31], -v[57:58]
	v_fma_f64 v[156:157], v[97:98], s[46:47], v[113:114]
	v_fma_f64 v[113:114], v[97:98], s[20:21], v[113:114]
	;; [unrolled: 1-line block ×4, first 2 shown]
	v_add_f64 v[87:88], v[3:4], v[67:68]
	v_add_f64 v[21:22], v[21:22], v[77:78]
	;; [unrolled: 1-line block ×7, first 2 shown]
	v_mul_f64 v[176:177], v[47:48], s[20:21]
	v_fma_f64 v[97:98], v[41:42], s[22:23], v[160:161]
	v_add_f64 v[158:159], v[158:159], v[117:118]
	v_add_f64 v[55:56], v[79:80], -v[17:18]
	v_fma_f64 v[178:179], v[43:44], s[42:43], v[81:82]
	v_fma_f64 v[119:120], v[29:30], s[34:35], v[63:64]
	v_add_f64 v[57:58], v[75:76], -v[19:20]
	v_mul_f64 v[180:181], v[49:50], s[28:29]
	v_add_f64 v[184:185], v[1:2], v[89:90]
	v_add_f64 v[67:68], v[79:80], v[17:18]
	;; [unrolled: 1-line block ×3, first 2 shown]
	v_fma_f64 v[89:90], v[31:32], s[16:17], -v[139:140]
	v_add_f64 v[182:183], v[1:2], v[95:96]
	v_add_f64 v[115:116], v[3:4], v[111:112]
	;; [unrolled: 1-line block ×5, first 2 shown]
	v_add_f64 v[65:66], v[73:74], -v[129:130]
	v_add_f64 v[23:24], v[23:24], v[99:100]
	v_fma_f64 v[85:86], v[35:36], s[26:27], v[85:86]
	v_add_f64 v[105:106], v[1:2], v[11:12]
	v_add_f64 v[71:72], v[71:72], -v[131:132]
	v_add_f64 v[75:76], v[73:74], v[129:130]
	v_add_f64 v[91:92], v[97:98], v[93:94]
	v_fma_f64 v[93:94], v[53:54], s[28:29], v[176:177]
	v_mul_f64 v[139:140], v[55:56], s[18:19]
	v_add_f64 v[11:12], v[178:179], v[158:159]
	v_add_f64 v[87:88], v[119:120], v[87:88]
	v_add_f64 v[119:120], v[3:4], v[156:157]
	v_fma_f64 v[95:96], v[57:58], s[46:47], v[180:181]
	v_mul_f64 v[158:159], v[51:52], s[24:25]
	v_mul_f64 v[156:157], v[67:68], s[40:41]
	v_fma_f64 v[160:161], v[41:42], s[22:23], -v[160:161]
	v_add_f64 v[178:179], v[89:90], v[79:80]
	v_add_f64 v[186:187], v[3:4], v[109:110]
	;; [unrolled: 1-line block ×11, first 2 shown]
	v_mul_f64 v[162:163], v[65:66], s[56:57]
	v_fma_f64 v[192:193], v[43:44], s[24:25], v[81:82]
	v_add_f64 v[83:84], v[93:94], v[91:92]
	v_fma_f64 v[135:136], v[63:64], s[40:41], v[139:140]
	v_add_f64 v[89:90], v[3:4], v[164:165]
	v_add_f64 v[190:191], v[85:86], v[87:88]
	;; [unrolled: 1-line block ×4, first 2 shown]
	v_mul_f64 v[137:138], v[45:46], s[22:23]
	v_add_f64 v[11:12], v[95:96], v[11:12]
	v_add_f64 v[79:80], v[99:100], -v[125:126]
	v_fma_f64 v[141:142], v[25:26], s[22:23], v[158:159]
	v_mul_f64 v[164:165], v[59:60], s[18:19]
	v_add_f64 v[81:82], v[77:78], -v[127:128]
	v_add_f64 v[97:98], v[1:2], v[143:144]
	v_add_f64 v[143:144], v[160:161], v[178:179]
	;; [unrolled: 1-line block ×3, first 2 shown]
	v_mul_f64 v[127:128], v[75:76], s[62:63]
	v_add_f64 v[23:24], v[23:24], v[129:130]
	v_fma_f64 v[129:130], v[71:72], s[58:59], v[156:157]
	v_fma_f64 v[160:161], v[53:54], s[28:29], -v[176:177]
	v_add_f64 v[148:149], v[3:4], v[148:149]
	v_add_f64 v[150:151], v[3:4], v[150:151]
	;; [unrolled: 1-line block ×9, first 2 shown]
	v_fma_f64 v[135:136], v[73:74], s[62:63], v[162:163]
	v_add_f64 v[146:147], v[192:193], v[190:191]
	v_add_f64 v[83:84], v[99:100], v[125:126]
	v_fma_f64 v[125:126], v[57:58], s[20:21], v[180:181]
	v_add_f64 v[99:100], v[3:4], v[170:171]
	v_add_f64 v[77:78], v[61:62], v[123:124]
	v_mul_f64 v[166:167], v[79:80], s[44:45]
	v_add_f64 v[141:142], v[141:142], v[172:173]
	v_add_f64 v[3:4], v[21:22], v[131:132]
	v_fma_f64 v[21:22], v[29:30], s[42:43], v[137:138]
	v_mul_f64 v[131:132], v[33:34], s[40:41]
	v_add_f64 v[17:18], v[23:24], v[17:18]
	v_fma_f64 v[168:169], v[31:32], s[40:41], v[164:165]
	v_mul_f64 v[170:171], v[37:38], s[44:45]
	v_add_f64 v[11:12], v[129:130], v[11:12]
	v_fma_f64 v[129:130], v[25:26], s[22:23], -v[158:159]
	v_fma_f64 v[158:159], v[81:82], s[64:65], v[127:128]
	v_add_f64 v[143:144], v[160:161], v[143:144]
	v_mul_f64 v[160:161], v[45:46], s[40:41]
	v_mul_f64 v[23:24], v[51:52], s[18:19]
	v_fma_f64 v[139:140], v[63:64], s[40:41], -v[139:140]
	v_fma_f64 v[137:138], v[29:30], s[24:25], v[137:138]
	v_add_f64 v[1:2], v[135:136], v[1:2]
	v_add_f64 v[61:62], v[61:62], -v[123:124]
	v_mul_f64 v[123:124], v[83:84], s[48:49]
	v_add_f64 v[125:126], v[125:126], v[146:147]
	v_fma_f64 v[135:136], v[71:72], s[18:19], v[156:157]
	v_mul_f64 v[146:147], v[39:40], s[48:49]
	v_mul_f64 v[172:173], v[47:48], s[64:65]
	;; [unrolled: 1-line block ×3, first 2 shown]
	v_add_f64 v[3:4], v[3:4], v[19:20]
	v_add_f64 v[19:20], v[21:22], v[148:149]
	v_fma_f64 v[21:22], v[35:36], s[58:59], v[131:132]
	v_fma_f64 v[148:149], v[77:78], s[48:49], v[166:167]
	v_add_f64 v[13:14], v[17:18], v[13:14]
	v_add_f64 v[141:142], v[168:169], v[141:142]
	v_fma_f64 v[168:169], v[41:42], s[48:49], v[170:171]
	v_add_f64 v[129:130], v[129:130], v[174:175]
	v_add_f64 v[11:12], v[158:159], v[11:12]
	v_mul_f64 v[174:175], v[33:34], s[48:49]
	v_fma_f64 v[158:159], v[29:30], s[58:59], v[160:161]
	v_fma_f64 v[17:18], v[25:26], s[40:41], v[23:24]
	v_fma_f64 v[164:165], v[31:32], s[40:41], -v[164:165]
	v_add_f64 v[137:138], v[137:138], v[150:151]
	v_fma_f64 v[131:132], v[35:36], s[18:19], v[131:132]
	v_add_f64 v[139:140], v[139:140], v[143:144]
	v_fma_f64 v[143:144], v[61:62], s[54:55], v[123:124]
	v_fma_f64 v[150:151], v[73:74], s[62:63], -v[162:163]
	v_add_f64 v[125:126], v[135:136], v[125:126]
	v_fma_f64 v[127:128], v[81:82], s[56:57], v[127:128]
	v_mul_f64 v[135:136], v[49:50], s[62:63]
	v_mul_f64 v[162:163], v[37:38], s[46:47]
	v_add_f64 v[15:16], v[3:4], v[15:16]
	v_fma_f64 v[23:24], v[25:26], s[40:41], -v[23:24]
	v_add_f64 v[19:20], v[21:22], v[19:20]
	v_fma_f64 v[21:22], v[43:44], s[54:55], v[146:147]
	v_add_f64 v[9:10], v[13:14], v[9:10]
	v_add_f64 v[1:2], v[148:149], v[1:2]
	v_add_f64 v[141:142], v[168:169], v[141:142]
	v_fma_f64 v[148:149], v[53:54], s[62:63], v[172:173]
	v_mul_f64 v[168:169], v[39:40], s[28:29]
	v_fma_f64 v[123:124], v[61:62], s[44:45], v[123:124]
	v_add_f64 v[152:153], v[158:159], v[152:153]
	v_fma_f64 v[158:159], v[35:36], s[44:45], v[174:175]
	v_add_f64 v[13:14], v[17:18], v[182:183]
	;; [unrolled: 2-line block ×3, first 2 shown]
	v_fma_f64 v[164:165], v[41:42], s[48:49], -v[170:171]
	v_add_f64 v[131:132], v[131:132], v[137:138]
	v_fma_f64 v[137:138], v[43:44], s[44:45], v[146:147]
	v_add_f64 v[3:4], v[143:144], v[11:12]
	v_add_f64 v[11:12], v[150:151], v[139:140]
	v_mul_f64 v[139:140], v[55:56], s[46:47]
	v_fma_f64 v[143:144], v[29:30], s[18:19], v[160:161]
	v_add_f64 v[125:126], v[127:128], v[125:126]
	v_mul_f64 v[127:128], v[67:68], s[28:29]
	v_fma_f64 v[146:147], v[77:78], s[48:49], -v[166:167]
	v_add_f64 v[19:20], v[21:22], v[19:20]
	v_fma_f64 v[21:22], v[57:58], s[56:57], v[135:136]
	v_add_f64 v[15:16], v[15:16], v[5:6]
	v_add_f64 v[9:10], v[9:10], v[133:134]
	;; [unrolled: 1-line block ×3, first 2 shown]
	v_fma_f64 v[148:149], v[43:44], s[20:21], v[168:169]
	v_mul_f64 v[150:151], v[47:48], s[36:37]
	v_fma_f64 v[135:136], v[57:58], s[64:65], v[135:136]
	v_add_f64 v[141:142], v[158:159], v[152:153]
	v_mul_f64 v[152:153], v[49:50], s[30:31]
	v_add_f64 v[13:14], v[17:18], v[13:14]
	v_fma_f64 v[17:18], v[41:42], s[28:29], v[162:163]
	v_add_f64 v[129:130], v[164:165], v[129:130]
	v_add_f64 v[23:24], v[23:24], v[184:185]
	;; [unrolled: 1-line block ×3, first 2 shown]
	v_fma_f64 v[137:138], v[53:54], s[62:63], -v[172:173]
	v_fma_f64 v[156:157], v[31:32], s[48:49], -v[156:157]
	v_fma_f64 v[158:159], v[63:64], s[28:29], v[139:140]
	v_add_f64 v[143:144], v[143:144], v[186:187]
	v_fma_f64 v[160:161], v[35:36], s[54:55], v[174:175]
	v_mul_f64 v[166:167], v[75:76], s[16:17]
	v_add_f64 v[5:6], v[146:147], v[11:12]
	v_mul_f64 v[164:165], v[65:66], s[38:39]
	v_add_f64 v[19:20], v[21:22], v[19:20]
	v_fma_f64 v[21:22], v[71:72], s[20:21], v[127:128]
	v_add_f64 v[11:12], v[15:16], v[7:8]
	v_add_f64 v[7:8], v[123:124], v[125:126]
	;; [unrolled: 1-line block ×3, first 2 shown]
	v_mul_f64 v[121:122], v[51:52], s[44:45]
	v_mul_f64 v[170:171], v[55:56], s[50:51]
	v_add_f64 v[123:124], v[148:149], v[141:142]
	v_fma_f64 v[125:126], v[57:58], s[34:35], v[152:153]
	v_mul_f64 v[141:142], v[67:68], s[52:53]
	v_add_f64 v[13:14], v[17:18], v[13:14]
	v_fma_f64 v[17:18], v[53:54], s[30:31], v[150:151]
	v_fma_f64 v[127:128], v[71:72], s[46:47], v[127:128]
	v_add_f64 v[131:132], v[135:136], v[131:132]
	v_add_f64 v[129:130], v[137:138], v[129:130]
	v_fma_f64 v[135:136], v[63:64], s[28:29], -v[139:140]
	v_add_f64 v[133:134], v[158:159], v[133:134]
	v_add_f64 v[23:24], v[156:157], v[23:24]
	;; [unrolled: 1-line block ×3, first 2 shown]
	v_fma_f64 v[139:140], v[41:42], s[28:29], -v[162:163]
	v_fma_f64 v[143:144], v[43:44], s[46:47], v[168:169]
	v_fma_f64 v[146:147], v[81:82], s[26:27], v[166:167]
	v_mul_f64 v[160:161], v[59:60], s[46:47]
	v_add_f64 v[19:20], v[21:22], v[19:20]
	v_add_f64 v[9:10], v[11:12], v[27:28]
	v_mul_f64 v[27:28], v[45:46], s[48:49]
	v_mul_f64 v[162:163], v[75:76], s[22:23]
	v_fma_f64 v[158:159], v[25:26], s[48:49], v[121:122]
	v_fma_f64 v[21:22], v[73:74], s[16:17], v[164:165]
	v_mul_f64 v[148:149], v[65:66], s[24:25]
	v_add_f64 v[123:124], v[125:126], v[123:124]
	v_fma_f64 v[125:126], v[71:72], s[60:61], v[141:142]
	v_mul_f64 v[156:157], v[79:80], s[60:61]
	v_add_f64 v[13:14], v[17:18], v[13:14]
	;; [unrolled: 3-line block ×3, first 2 shown]
	v_add_f64 v[129:130], v[135:136], v[129:130]
	v_fma_f64 v[131:132], v[73:74], s[16:17], -v[164:165]
	v_fma_f64 v[135:136], v[81:82], s[38:39], v[166:167]
	v_add_f64 v[11:12], v[15:16], v[69:70]
	v_add_f64 v[15:16], v[139:140], v[23:24]
	;; [unrolled: 1-line block ×3, first 2 shown]
	v_fma_f64 v[69:70], v[53:54], s[30:31], -v[150:151]
	v_fma_f64 v[137:138], v[57:58], s[36:37], v[152:153]
	v_add_f64 v[19:20], v[146:147], v[19:20]
	v_mul_f64 v[143:144], v[33:34], s[28:29]
	v_fma_f64 v[139:140], v[29:30], s[54:55], v[27:28]
	v_fma_f64 v[150:151], v[31:32], s[28:29], v[160:161]
	v_add_f64 v[146:147], v[158:159], v[188:189]
	v_mul_f64 v[152:153], v[37:38], s[60:61]
	v_mul_f64 v[158:159], v[83:84], s[62:63]
	v_add_f64 v[21:22], v[21:22], v[133:134]
	v_add_f64 v[123:124], v[125:126], v[123:124]
	v_fma_f64 v[125:126], v[81:82], s[42:43], v[162:163]
	v_fma_f64 v[164:165], v[77:78], s[52:53], v[156:157]
	v_add_f64 v[13:14], v[17:18], v[13:14]
	v_fma_f64 v[17:18], v[73:74], s[22:23], v[148:149]
	v_fma_f64 v[166:167], v[61:62], s[50:51], v[168:169]
	v_mul_f64 v[172:173], v[39:40], s[52:53]
	v_add_f64 v[129:130], v[131:132], v[129:130]
	v_add_f64 v[127:128], v[135:136], v[127:128]
	v_fma_f64 v[131:132], v[77:78], s[52:53], -v[156:157]
	v_mul_f64 v[135:136], v[51:52], s[64:65]
	v_mul_f64 v[156:157], v[45:46], s[62:63]
	v_add_f64 v[15:16], v[69:70], v[15:16]
	v_add_f64 v[23:24], v[137:138], v[23:24]
	v_fma_f64 v[69:70], v[63:64], s[52:53], -v[170:171]
	v_fma_f64 v[137:138], v[71:72], s[50:51], v[141:142]
	v_fma_f64 v[141:142], v[61:62], s[60:61], v[168:169]
	v_add_f64 v[139:140], v[139:140], v[154:155]
	v_fma_f64 v[154:155], v[35:36], s[20:21], v[143:144]
	v_add_f64 v[146:147], v[150:151], v[146:147]
	v_fma_f64 v[150:151], v[41:42], s[52:53], v[152:153]
	v_mul_f64 v[174:175], v[47:48], s[26:27]
	v_fma_f64 v[121:122], v[25:26], s[48:49], -v[121:122]
	v_add_f64 v[123:124], v[125:126], v[123:124]
	v_fma_f64 v[125:126], v[61:62], s[64:65], v[158:159]
	v_fma_f64 v[27:28], v[29:30], s[44:45], v[27:28]
	v_mul_f64 v[133:134], v[79:80], s[56:57]
	v_add_f64 v[168:169], v[17:18], v[13:14]
	v_add_f64 v[17:18], v[164:165], v[21:22]
	;; [unrolled: 1-line block ×3, first 2 shown]
	v_mul_f64 v[164:165], v[59:60], s[36:37]
	v_add_f64 v[13:14], v[131:132], v[129:130]
	v_fma_f64 v[129:130], v[25:26], s[62:63], v[135:136]
	v_fma_f64 v[131:132], v[29:30], s[56:57], v[156:157]
	v_mul_f64 v[166:167], v[33:34], s[30:31]
	v_fma_f64 v[148:149], v[73:74], s[22:23], -v[148:149]
	v_add_f64 v[69:70], v[69:70], v[15:16]
	v_add_f64 v[137:138], v[137:138], v[23:24]
	;; [unrolled: 1-line block ×3, first 2 shown]
	v_mul_f64 v[141:142], v[49:50], s[16:17]
	v_add_f64 v[127:128], v[154:155], v[139:140]
	v_fma_f64 v[139:140], v[43:44], s[50:51], v[172:173]
	v_add_f64 v[146:147], v[150:151], v[146:147]
	v_fma_f64 v[150:151], v[53:54], s[16:17], v[174:175]
	v_mul_f64 v[154:155], v[51:52], s[46:47]
	v_add_f64 v[117:118], v[121:122], v[117:118]
	v_add_f64 v[23:24], v[125:126], v[123:124]
	v_fma_f64 v[121:122], v[31:32], s[28:29], -v[160:161]
	v_add_f64 v[27:28], v[27:28], v[115:116]
	v_fma_f64 v[115:116], v[35:36], s[46:47], v[143:144]
	v_mul_f64 v[123:124], v[45:46], s[28:29]
	v_fma_f64 v[170:171], v[77:78], s[62:63], v[133:134]
	v_fma_f64 v[162:163], v[81:82], s[24:25], v[162:163]
	;; [unrolled: 1-line block ×3, first 2 shown]
	v_add_f64 v[111:112], v[129:130], v[111:112]
	v_add_f64 v[119:120], v[131:132], v[119:120]
	v_fma_f64 v[129:130], v[35:36], s[34:35], v[166:167]
	v_mul_f64 v[131:132], v[37:38], s[26:27]
	v_mul_f64 v[143:144], v[39:40], s[16:17]
	v_add_f64 v[69:70], v[148:149], v[69:70]
	v_fma_f64 v[135:136], v[25:26], s[62:63], -v[135:136]
	v_fma_f64 v[148:149], v[29:30], s[64:65], v[156:157]
	v_mul_f64 v[156:157], v[55:56], s[56:57]
	v_add_f64 v[127:128], v[139:140], v[127:128]
	v_fma_f64 v[139:140], v[57:58], s[38:39], v[141:142]
	v_add_f64 v[146:147], v[150:151], v[146:147]
	v_fma_f64 v[150:151], v[25:26], s[28:29], v[154:155]
	v_mul_f64 v[160:161], v[59:60], s[50:51]
	v_fma_f64 v[141:142], v[57:58], s[26:27], v[141:142]
	v_add_f64 v[117:118], v[121:122], v[117:118]
	v_fma_f64 v[121:122], v[41:42], s[52:53], -v[152:153]
	v_add_f64 v[27:28], v[115:116], v[27:28]
	v_fma_f64 v[115:116], v[29:30], s[20:21], v[123:124]
	v_mul_f64 v[152:153], v[33:34], s[52:53]
	v_add_f64 v[21:22], v[170:171], v[168:169]
	v_add_f64 v[137:138], v[162:163], v[137:138]
	v_mul_f64 v[162:163], v[67:68], s[62:63]
	v_fma_f64 v[168:169], v[43:44], s[60:61], v[172:173]
	v_add_f64 v[111:112], v[125:126], v[111:112]
	v_add_f64 v[119:120], v[129:130], v[119:120]
	v_fma_f64 v[125:126], v[41:42], s[16:17], v[131:132]
	v_fma_f64 v[129:130], v[43:44], s[38:39], v[143:144]
	v_mul_f64 v[170:171], v[47:48], s[44:45]
	v_mul_f64 v[172:173], v[49:50], s[48:49]
	v_add_f64 v[105:106], v[135:136], v[105:106]
	v_add_f64 v[109:110], v[148:149], v[109:110]
	v_fma_f64 v[135:136], v[31:32], s[30:31], -v[164:165]
	v_fma_f64 v[148:149], v[35:36], s[36:37], v[166:167]
	v_add_f64 v[127:128], v[139:140], v[127:128]
	v_fma_f64 v[139:140], v[63:64], s[62:63], v[156:157]
	v_mul_f64 v[164:165], v[65:66], s[58:59]
	v_add_f64 v[107:108], v[150:151], v[107:108]
	v_fma_f64 v[150:151], v[31:32], s[52:53], v[160:161]
	v_mul_f64 v[166:167], v[37:38], s[56:57]
	v_add_f64 v[117:118], v[121:122], v[117:118]
	v_fma_f64 v[121:122], v[53:54], s[16:17], -v[174:175]
	v_add_f64 v[113:114], v[115:116], v[113:114]
	v_fma_f64 v[115:116], v[35:36], s[60:61], v[152:153]
	v_mul_f64 v[174:175], v[39:40], s[62:63]
	v_fma_f64 v[176:177], v[71:72], s[64:65], v[162:163]
	v_add_f64 v[27:28], v[168:169], v[27:28]
	v_mul_f64 v[168:169], v[55:56], s[42:43]
	v_add_f64 v[111:112], v[125:126], v[111:112]
	v_add_f64 v[119:120], v[129:130], v[119:120]
	v_fma_f64 v[125:126], v[53:54], s[48:49], v[170:171]
	v_fma_f64 v[129:130], v[57:58], s[54:55], v[172:173]
	v_mul_f64 v[178:179], v[67:68], s[22:23]
	v_fma_f64 v[131:132], v[41:42], s[16:17], -v[131:132]
	v_add_f64 v[105:106], v[135:136], v[105:106]
	v_add_f64 v[109:110], v[148:149], v[109:110]
	v_fma_f64 v[135:136], v[43:44], s[26:27], v[143:144]
	v_add_f64 v[139:140], v[139:140], v[146:147]
	v_fma_f64 v[143:144], v[73:74], s[40:41], v[164:165]
	v_mul_f64 v[148:149], v[47:48], s[42:43]
	v_add_f64 v[107:108], v[150:151], v[107:108]
	v_fma_f64 v[146:147], v[41:42], s[62:63], v[166:167]
	v_fma_f64 v[154:155], v[25:26], s[28:29], -v[154:155]
	v_add_f64 v[117:118], v[121:122], v[117:118]
	v_fma_f64 v[121:122], v[63:64], s[62:63], -v[156:157]
	v_add_f64 v[113:114], v[115:116], v[113:114]
	v_fma_f64 v[115:116], v[43:44], s[64:65], v[174:175]
	v_mul_f64 v[156:157], v[49:50], s[22:23]
	v_add_f64 v[127:128], v[176:177], v[127:128]
	v_add_f64 v[27:28], v[141:142], v[27:28]
	v_fma_f64 v[141:142], v[71:72], s[56:57], v[162:163]
	v_mul_f64 v[162:163], v[65:66], s[50:51]
	v_add_f64 v[111:112], v[125:126], v[111:112]
	v_add_f64 v[119:120], v[129:130], v[119:120]
	v_fma_f64 v[125:126], v[63:64], s[22:23], v[168:169]
	v_fma_f64 v[129:130], v[71:72], s[24:25], v[178:179]
	v_mul_f64 v[176:177], v[75:76], s[52:53]
	v_add_f64 v[105:106], v[131:132], v[105:106]
	v_add_f64 v[109:110], v[135:136], v[109:110]
	v_fma_f64 v[131:132], v[53:54], s[48:49], -v[170:171]
	v_fma_f64 v[135:136], v[57:58], s[44:45], v[172:173]
	v_add_f64 v[139:140], v[143:144], v[139:140]
	v_fma_f64 v[143:144], v[53:54], s[22:23], v[148:149]
	v_add_f64 v[107:108], v[146:147], v[107:108]
	v_mul_f64 v[146:147], v[55:56], s[34:35]
	v_add_f64 v[103:104], v[154:155], v[103:104]
	v_add_f64 v[117:118], v[121:122], v[117:118]
	v_mul_f64 v[121:122], v[67:68], s[30:31]
	v_add_f64 v[113:114], v[115:116], v[113:114]
	v_fma_f64 v[115:116], v[57:58], s[24:25], v[156:157]
	v_fma_f64 v[154:155], v[31:32], s[52:53], -v[160:161]
	v_fma_f64 v[123:124], v[29:30], s[46:47], v[123:124]
	v_fma_f64 v[152:153], v[35:36], s[50:51], v[152:153]
	v_mul_f64 v[150:151], v[75:76], s[40:41]
	v_fma_f64 v[164:165], v[73:74], s[40:41], -v[164:165]
	v_add_f64 v[27:28], v[141:142], v[27:28]
	v_add_f64 v[111:112], v[125:126], v[111:112]
	;; [unrolled: 1-line block ×3, first 2 shown]
	v_fma_f64 v[125:126], v[73:74], s[52:53], v[162:163]
	v_fma_f64 v[129:130], v[81:82], s[60:61], v[176:177]
	v_mul_f64 v[172:173], v[79:80], s[36:37]
	v_add_f64 v[105:106], v[131:132], v[105:106]
	v_add_f64 v[109:110], v[135:136], v[109:110]
	v_fma_f64 v[131:132], v[63:64], s[22:23], -v[168:169]
	v_fma_f64 v[135:136], v[71:72], s[42:43], v[178:179]
	v_add_f64 v[107:108], v[143:144], v[107:108]
	v_fma_f64 v[143:144], v[63:64], s[30:31], v[146:147]
	v_mul_f64 v[168:169], v[51:52], s[38:39]
	v_mul_f64 v[178:179], v[45:46], s[16:17]
	;; [unrolled: 1-line block ×4, first 2 shown]
	v_add_f64 v[113:114], v[115:116], v[113:114]
	v_fma_f64 v[115:116], v[71:72], s[36:37], v[121:122]
	v_add_f64 v[103:104], v[154:155], v[103:104]
	v_add_f64 v[101:102], v[123:124], v[101:102]
	v_fma_f64 v[170:171], v[81:82], s[18:19], v[150:151]
	v_fma_f64 v[150:151], v[81:82], s[58:59], v[150:151]
	v_add_f64 v[117:118], v[164:165], v[117:118]
	v_mul_f64 v[164:165], v[79:80], s[18:19]
	v_fma_f64 v[162:163], v[73:74], s[52:53], -v[162:163]
	v_add_f64 v[111:112], v[125:126], v[111:112]
	v_add_f64 v[119:120], v[129:130], v[119:120]
	v_fma_f64 v[176:177], v[81:82], s[50:51], v[176:177]
	v_mul_f64 v[141:142], v[83:84], s[30:31]
	v_fma_f64 v[133:134], v[77:78], s[62:63], -v[133:134]
	v_add_f64 v[105:106], v[131:132], v[105:106]
	v_add_f64 v[109:110], v[135:136], v[109:110]
	v_mul_f64 v[131:132], v[59:60], s[24:25]
	v_add_f64 v[107:108], v[143:144], v[107:108]
	v_fma_f64 v[125:126], v[25:26], s[16:17], v[168:169]
	v_fma_f64 v[129:130], v[29:30], s[26:27], v[178:179]
	v_mul_f64 v[135:136], v[33:34], s[22:23]
	v_fma_f64 v[143:144], v[25:26], s[16:17], -v[168:169]
	v_fma_f64 v[154:155], v[29:30], s[50:51], v[45:46]
	v_add_f64 v[113:114], v[115:116], v[113:114]
	v_fma_f64 v[115:116], v[29:30], s[38:39], v[178:179]
	v_fma_f64 v[178:179], v[25:26], s[52:53], v[51:52]
	v_mul_f64 v[59:60], v[59:60], s[56:57]
	v_fma_f64 v[25:26], v[25:26], s[52:53], -v[51:52]
	v_mul_f64 v[33:34], v[33:34], s[62:63]
	v_fma_f64 v[29:30], v[29:30], s[60:61], v[45:46]
	v_mul_f64 v[168:169], v[65:66], s[44:45]
	v_mul_f64 v[45:46], v[75:76], s[48:49]
	v_add_f64 v[150:151], v[150:151], v[27:28]
	v_mul_f64 v[27:28], v[83:84], s[40:41]
	v_add_f64 v[127:128], v[170:171], v[127:128]
	v_fma_f64 v[170:171], v[77:78], s[30:31], v[172:173]
	v_fma_f64 v[172:173], v[77:78], s[30:31], -v[172:173]
	v_fma_f64 v[123:124], v[77:78], s[40:41], v[164:165]
	v_fma_f64 v[160:161], v[61:62], s[34:35], v[141:142]
	;; [unrolled: 1-line block ×3, first 2 shown]
	v_add_f64 v[87:88], v[125:126], v[87:88]
	v_add_f64 v[89:90], v[129:130], v[89:90]
	v_fma_f64 v[125:126], v[31:32], s[22:23], v[131:132]
	v_fma_f64 v[129:130], v[35:36], s[42:43], v[135:136]
	v_add_f64 v[85:86], v[143:144], v[85:86]
	v_mul_f64 v[143:144], v[37:38], s[58:59]
	v_add_f64 v[91:92], v[115:116], v[91:92]
	v_mul_f64 v[115:116], v[39:40], s[40:41]
	v_add_f64 v[97:98], v[178:179], v[97:98]
	v_fma_f64 v[131:132], v[31:32], s[22:23], -v[131:132]
	v_fma_f64 v[135:136], v[35:36], s[24:25], v[135:136]
	v_add_f64 v[95:96], v[154:155], v[95:96]
	v_fma_f64 v[154:155], v[31:32], s[62:63], v[59:60]
	v_add_f64 v[25:26], v[25:26], v[93:94]
	v_fma_f64 v[93:94], v[35:36], s[64:65], v[33:34]
	v_mul_f64 v[37:38], v[37:38], s[36:37]
	v_mul_f64 v[39:40], v[39:40], s[30:31]
	v_add_f64 v[29:30], v[29:30], v[99:100]
	v_fma_f64 v[31:32], v[31:32], s[62:63], -v[59:60]
	v_fma_f64 v[33:34], v[35:36], s[56:57], v[33:34]
	v_add_f64 v[35:36], v[152:153], v[101:102]
	v_fma_f64 v[101:102], v[41:42], s[62:63], -v[166:167]
	v_fma_f64 v[152:153], v[43:44], s[56:57], v[174:175]
	v_mul_f64 v[166:167], v[47:48], s[50:51]
	v_add_f64 v[87:88], v[125:126], v[87:88]
	v_add_f64 v[89:90], v[129:130], v[89:90]
	v_mul_f64 v[174:175], v[49:50], s[52:53]
	v_fma_f64 v[125:126], v[41:42], s[40:41], v[143:144]
	v_mul_f64 v[47:48], v[47:48], s[18:19]
	v_fma_f64 v[129:130], v[43:44], s[18:19], v[115:116]
	v_fma_f64 v[115:116], v[43:44], s[58:59], v[115:116]
	v_add_f64 v[85:86], v[131:132], v[85:86]
	v_add_f64 v[91:92], v[135:136], v[91:92]
	v_fma_f64 v[135:136], v[41:42], s[40:41], -v[143:144]
	v_add_f64 v[97:98], v[154:155], v[97:98]
	v_mul_f64 v[49:50], v[49:50], s[40:41]
	v_add_f64 v[93:94], v[93:94], v[95:96]
	v_fma_f64 v[95:96], v[41:42], s[30:31], v[37:38]
	v_fma_f64 v[143:144], v[43:44], s[34:35], v[39:40]
	v_fma_f64 v[99:100], v[81:82], s[54:55], v[45:46]
	v_add_f64 v[25:26], v[31:32], v[25:26]
	v_add_f64 v[29:30], v[33:34], v[29:30]
	v_fma_f64 v[31:32], v[41:42], s[30:31], -v[37:38]
	v_fma_f64 v[33:34], v[43:44], s[36:37], v[39:40]
	v_add_f64 v[37:38], v[101:102], v[103:104]
	v_add_f64 v[35:36], v[152:153], v[35:36]
	v_fma_f64 v[39:40], v[53:54], s[22:23], -v[148:149]
	v_fma_f64 v[41:42], v[57:58], s[42:43], v[156:157]
	v_fma_f64 v[101:102], v[57:58], s[60:61], v[174:175]
	v_add_f64 v[43:44], v[125:126], v[87:88]
	v_mul_f64 v[103:104], v[55:56], s[44:45]
	v_add_f64 v[87:88], v[129:130], v[89:90]
	v_fma_f64 v[89:90], v[53:54], s[52:53], v[166:167]
	v_mul_f64 v[125:126], v[67:68], s[48:49]
	v_add_f64 v[91:92], v[115:116], v[91:92]
	v_add_f64 v[85:86], v[135:136], v[85:86]
	v_fma_f64 v[115:116], v[53:54], s[52:53], -v[166:167]
	v_fma_f64 v[129:130], v[57:58], s[50:51], v[174:175]
	v_fma_f64 v[135:136], v[57:58], s[58:59], v[49:50]
	v_add_f64 v[95:96], v[95:96], v[97:98]
	v_add_f64 v[93:94], v[143:144], v[93:94]
	v_fma_f64 v[97:98], v[53:54], s[40:41], v[47:48]
	v_mul_f64 v[55:56], v[55:56], s[38:39]
	v_mul_f64 v[67:68], v[67:68], s[16:17]
	v_add_f64 v[25:26], v[31:32], v[25:26]
	v_add_f64 v[29:30], v[33:34], v[29:30]
	v_fma_f64 v[31:32], v[53:54], s[40:41], -v[47:48]
	v_fma_f64 v[33:34], v[57:58], s[18:19], v[49:50]
	v_add_f64 v[37:38], v[39:40], v[37:38]
	v_add_f64 v[35:36], v[41:42], v[35:36]
	v_fma_f64 v[39:40], v[63:64], s[30:31], -v[146:147]
	v_fma_f64 v[41:42], v[71:72], s[34:35], v[121:122]
	v_fma_f64 v[49:50], v[63:64], s[48:49], v[103:104]
	v_add_f64 v[47:48], v[101:102], v[87:88]
	v_add_f64 v[43:44], v[89:90], v[43:44]
	v_fma_f64 v[53:54], v[71:72], s[54:55], v[125:126]
	v_mul_f64 v[57:58], v[65:66], s[36:37]
	v_mul_f64 v[87:88], v[75:76], s[30:31]
	v_add_f64 v[85:86], v[115:116], v[85:86]
	v_add_f64 v[89:90], v[129:130], v[91:92]
	v_fma_f64 v[91:92], v[63:64], s[48:49], -v[103:104]
	v_fma_f64 v[101:102], v[71:72], s[44:45], v[125:126]
	v_add_f64 v[93:94], v[135:136], v[93:94]
	v_add_f64 v[95:96], v[97:98], v[95:96]
	v_fma_f64 v[97:98], v[63:64], s[16:17], v[55:56]
	v_fma_f64 v[103:104], v[71:72], s[26:27], v[67:68]
	v_mul_f64 v[65:66], v[65:66], s[20:21]
	v_mul_f64 v[75:76], v[75:76], s[28:29]
	v_add_f64 v[25:26], v[31:32], v[25:26]
	v_add_f64 v[29:30], v[33:34], v[29:30]
	v_fma_f64 v[31:32], v[63:64], s[16:17], -v[55:56]
	v_fma_f64 v[33:34], v[71:72], s[38:39], v[67:68]
	v_mul_f64 v[59:60], v[79:80], s[38:39]
	v_mul_f64 v[131:132], v[83:84], s[16:17]
	v_add_f64 v[37:38], v[39:40], v[37:38]
	v_add_f64 v[35:36], v[41:42], v[35:36]
	v_fma_f64 v[39:40], v[73:74], s[48:49], -v[168:169]
	v_fma_f64 v[41:42], v[81:82], s[44:45], v[45:46]
	v_add_f64 v[43:44], v[49:50], v[43:44]
	v_add_f64 v[45:46], v[53:54], v[47:48]
	v_fma_f64 v[47:48], v[73:74], s[30:31], v[57:58]
	v_fma_f64 v[49:50], v[81:82], s[34:35], v[87:88]
	v_mul_f64 v[53:54], v[79:80], s[20:21]
	v_mul_f64 v[55:56], v[83:84], s[28:29]
	v_add_f64 v[63:64], v[91:92], v[85:86]
	v_add_f64 v[67:68], v[101:102], v[89:90]
	v_fma_f64 v[57:58], v[73:74], s[30:31], -v[57:58]
	v_fma_f64 v[71:72], v[81:82], s[36:37], v[87:88]
	v_add_f64 v[85:86], v[97:98], v[95:96]
	v_add_f64 v[87:88], v[103:104], v[93:94]
	v_fma_f64 v[89:90], v[73:74], s[28:29], v[65:66]
	v_fma_f64 v[91:92], v[81:82], s[46:47], v[75:76]
	v_mul_f64 v[79:80], v[79:80], s[42:43]
	v_mul_f64 v[83:84], v[83:84], s[22:23]
	v_fma_f64 v[178:179], v[73:74], s[48:49], v[168:169]
	v_add_f64 v[25:26], v[31:32], v[25:26]
	v_add_f64 v[29:30], v[33:34], v[29:30]
	v_fma_f64 v[31:32], v[73:74], s[28:29], -v[65:66]
	v_fma_f64 v[33:34], v[81:82], s[20:21], v[75:76]
	v_fma_f64 v[51:52], v[61:62], s[58:59], v[27:28]
	v_add_f64 v[65:66], v[162:163], v[105:106]
	v_add_f64 v[73:74], v[176:177], v[109:110]
	v_fma_f64 v[75:76], v[77:78], s[40:41], -v[164:165]
	v_add_f64 v[93:94], v[99:100], v[113:114]
	v_fma_f64 v[95:96], v[77:78], s[16:17], v[59:60]
	v_add_f64 v[99:100], v[39:40], v[37:38]
	v_add_f64 v[36:37], v[41:42], v[35:36]
	;; [unrolled: 1-line block ×4, first 2 shown]
	v_fma_f64 v[103:104], v[77:78], s[28:29], v[53:54]
	v_fma_f64 v[105:106], v[61:62], s[46:47], v[55:56]
	v_add_f64 v[57:58], v[57:58], v[63:64]
	v_add_f64 v[67:68], v[71:72], v[67:68]
	v_fma_f64 v[63:64], v[77:78], s[28:29], -v[53:54]
	v_add_f64 v[71:72], v[89:90], v[85:86]
	v_add_f64 v[85:86], v[91:92], v[87:88]
	v_fma_f64 v[87:88], v[77:78], s[22:23], v[79:80]
	v_fma_f64 v[79:80], v[77:78], s[22:23], -v[79:80]
	v_fma_f64 v[109:110], v[61:62], s[20:21], v[55:56]
	v_fma_f64 v[77:78], v[77:78], s[16:17], -v[59:60]
	v_fma_f64 v[113:114], v[61:62], s[38:39], v[131:132]
	v_fma_f64 v[89:90], v[61:62], s[24:25], v[83:84]
	;; [unrolled: 1-line block ×3, first 2 shown]
	v_add_f64 v[81:82], v[178:179], v[107:108]
	v_add_f64 v[91:92], v[31:32], v[25:26]
	;; [unrolled: 1-line block ×3, first 2 shown]
	v_fma_f64 v[83:84], v[61:62], s[42:43], v[83:84]
	v_fma_f64 v[121:122], v[61:62], s[36:37], v[141:142]
	;; [unrolled: 1-line block ×3, first 2 shown]
	v_mul_hi_u32 v25, 0x24924925, v0
	v_add_f64 v[26:27], v[133:134], v[69:70]
	v_add_f64 v[40:41], v[51:52], v[119:120]
	;; [unrolled: 1-line block ×6, first 2 shown]
	ds_write_b128 v145, v[9:12]
	ds_write_b128 v145, v[1:4] offset:272
	ds_write_b128 v145, v[17:20] offset:544
	v_mul_u32_u24_e32 v1, 7, v25
	v_add_f64 v[30:31], v[170:171], v[139:140]
	v_add_f64 v[32:33], v[160:161], v[127:128]
	;; [unrolled: 1-line block ×16, first 2 shown]
	v_sub_nc_u32_e32 v0, v0, v1
	ds_write_b128 v145, v[21:24] offset:816
	ds_write_b128 v145, v[30:33] offset:1088
	;; [unrolled: 1-line block ×4, first 2 shown]
	v_add_nc_u32_e32 v1, s7, v0
	ds_write_b128 v145, v[50:53] offset:1904
	ds_write_b128 v145, v[58:61] offset:2176
	;; [unrolled: 1-line block ×10, first 2 shown]
	s_waitcnt lgkmcnt(0)
	v_cmp_gt_u32_e32 vcc_lo, s2, v1
	s_barrier
	buffer_gl0_inv
	s_or_b32 s2, s11, vcc_lo
	s_and_saveexec_b32 s11, s2
	s_cbranch_execz .LBB0_12
; %bb.11:
	s_load_dwordx2 s[4:5], s[4:5], 0x60
	v_mad_u64_u32 v[1:2], null, s8, v0, 0
	s_mul_i32 s11, s9, s7
	s_mul_hi_u32 s12, s8, s7
	s_mul_i32 s2, s6, s14
	s_mul_i32 s6, s8, s7
	s_add_i32 s7, s12, s11
	s_mul_i32 s1, s1, s33
	v_mad_u64_u32 v[2:3], null, s9, v0, v[2:3]
	s_mul_hi_u32 s8, s0, s33
	v_mul_i32_i24_e32 v0, 0x1210, v0
	v_lshlrev_b32_e32 v3, 4, v25
	s_lshl_b64 s[6:7], s[6:7], 4
	v_mul_lo_u32 v20, v25, s10
	s_add_i32 s1, s8, s1
	s_mul_i32 s0, s0, s33
	v_mov_b32_e32 v21, 0
	v_add3_u32 v28, 0, v0, v3
	s_waitcnt lgkmcnt(0)
	s_add_u32 s4, s4, s6
	s_addc_u32 s5, s5, s7
	s_lshl_b64 s[2:3], s[2:3], 4
	v_lshlrev_b64 v[0:1], 4, v[1:2]
	s_add_u32 s2, s4, s2
	s_addc_u32 s3, s5, s3
	s_lshl_b64 s[0:1], s[0:1], 4
	v_lshlrev_b64 v[2:3], 4, v[20:21]
	s_add_u32 s2, s2, s0
	s_addc_u32 s1, s3, s1
	s_mul_i32 s0, s10, 17
	v_add_co_u32 v30, vcc_lo, s2, v0
	v_add_nc_u32_e32 v20, s0, v20
	v_add_co_ci_u32_e32 v31, vcc_lo, s1, v1, vcc_lo
	v_add_co_u32 v18, vcc_lo, v30, v2
	v_lshlrev_b64 v[16:17], 4, v[20:21]
	v_add_nc_u32_e32 v20, s0, v20
	v_add_co_ci_u32_e32 v19, vcc_lo, v31, v3, vcc_lo
	ds_read_b128 v[0:3], v28
	ds_read_b128 v[4:7], v28 offset:272
	ds_read_b128 v[8:11], v28 offset:544
	;; [unrolled: 1-line block ×3, first 2 shown]
	v_lshlrev_b64 v[22:23], 4, v[20:21]
	v_add_nc_u32_e32 v20, s0, v20
	v_add_co_u32 v16, vcc_lo, v30, v16
	v_add_co_ci_u32_e32 v17, vcc_lo, v31, v17, vcc_lo
	v_lshlrev_b64 v[24:25], 4, v[20:21]
	v_add_nc_u32_e32 v20, s0, v20
	v_add_co_u32 v22, vcc_lo, v30, v22
	v_add_co_ci_u32_e32 v23, vcc_lo, v31, v23, vcc_lo
	v_add_co_u32 v24, vcc_lo, v30, v24
	v_lshlrev_b64 v[26:27], 4, v[20:21]
	v_add_nc_u32_e32 v20, s0, v20
	v_add_co_ci_u32_e32 v25, vcc_lo, v31, v25, vcc_lo
	s_waitcnt lgkmcnt(3)
	global_store_dwordx4 v[18:19], v[0:3], off
	s_waitcnt lgkmcnt(2)
	global_store_dwordx4 v[16:17], v[4:7], off
	;; [unrolled: 2-line block ×4, first 2 shown]
	v_lshlrev_b64 v[16:17], 4, v[20:21]
	v_add_nc_u32_e32 v20, s0, v20
	ds_read_b128 v[0:3], v28 offset:1088
	ds_read_b128 v[4:7], v28 offset:1360
	ds_read_b128 v[8:11], v28 offset:1632
	ds_read_b128 v[12:15], v28 offset:1904
	v_add_co_u32 v18, vcc_lo, v30, v26
	v_lshlrev_b64 v[22:23], 4, v[20:21]
	v_add_nc_u32_e32 v20, s0, v20
	v_add_co_ci_u32_e32 v19, vcc_lo, v31, v27, vcc_lo
	v_add_co_u32 v16, vcc_lo, v30, v16
	v_lshlrev_b64 v[24:25], 4, v[20:21]
	v_add_nc_u32_e32 v20, s0, v20
	v_add_co_ci_u32_e32 v17, vcc_lo, v31, v17, vcc_lo
	v_add_co_u32 v22, vcc_lo, v30, v22
	v_add_co_ci_u32_e32 v23, vcc_lo, v31, v23, vcc_lo
	v_add_co_u32 v24, vcc_lo, v30, v24
	v_lshlrev_b64 v[26:27], 4, v[20:21]
	v_add_nc_u32_e32 v20, s0, v20
	v_add_co_ci_u32_e32 v25, vcc_lo, v31, v25, vcc_lo
	s_waitcnt lgkmcnt(3)
	global_store_dwordx4 v[18:19], v[0:3], off
	s_waitcnt lgkmcnt(2)
	global_store_dwordx4 v[16:17], v[4:7], off
	;; [unrolled: 2-line block ×4, first 2 shown]
	ds_read_b128 v[0:3], v28 offset:2176
	ds_read_b128 v[4:7], v28 offset:2448
	v_lshlrev_b64 v[16:17], 4, v[20:21]
	v_add_nc_u32_e32 v20, s0, v20
	ds_read_b128 v[8:11], v28 offset:2720
	ds_read_b128 v[12:15], v28 offset:2992
	v_add_co_u32 v18, vcc_lo, v30, v26
	v_add_co_ci_u32_e32 v19, vcc_lo, v31, v27, vcc_lo
	v_lshlrev_b64 v[22:23], 4, v[20:21]
	v_add_nc_u32_e32 v20, s0, v20
	v_add_co_u32 v16, vcc_lo, v30, v16
	v_add_co_ci_u32_e32 v17, vcc_lo, v31, v17, vcc_lo
	v_lshlrev_b64 v[24:25], 4, v[20:21]
	v_add_nc_u32_e32 v20, s0, v20
	;; [unrolled: 4-line block ×3, first 2 shown]
	v_add_co_u32 v24, vcc_lo, v30, v24
	v_add_co_ci_u32_e32 v25, vcc_lo, v31, v25, vcc_lo
	s_waitcnt lgkmcnt(3)
	global_store_dwordx4 v[18:19], v[0:3], off
	s_waitcnt lgkmcnt(2)
	global_store_dwordx4 v[16:17], v[4:7], off
	;; [unrolled: 2-line block ×4, first 2 shown]
	v_lshlrev_b64 v[8:9], 4, v[20:21]
	v_add_co_u32 v22, vcc_lo, v30, v26
	v_add_nc_u32_e32 v20, s0, v20
	v_add_co_ci_u32_e32 v23, vcc_lo, v31, v27, vcc_lo
	v_add_co_u32 v26, vcc_lo, v30, v8
	ds_read_b128 v[0:3], v28 offset:3264
	ds_read_b128 v[4:7], v28 offset:3536
	v_add_co_ci_u32_e32 v27, vcc_lo, v31, v9, vcc_lo
	ds_read_b128 v[8:11], v28 offset:3808
	ds_read_b128 v[12:15], v28 offset:4080
	;; [unrolled: 1-line block ×3, first 2 shown]
	v_lshlrev_b64 v[24:25], 4, v[20:21]
	v_add_nc_u32_e32 v20, s0, v20
	v_lshlrev_b64 v[28:29], 4, v[20:21]
	v_add_nc_u32_e32 v20, s0, v20
	v_add_co_u32 v24, vcc_lo, v30, v24
	v_add_co_ci_u32_e32 v25, vcc_lo, v31, v25, vcc_lo
	v_lshlrev_b64 v[20:21], 4, v[20:21]
	v_add_co_u32 v28, vcc_lo, v30, v28
	v_add_co_ci_u32_e32 v29, vcc_lo, v31, v29, vcc_lo
	v_add_co_u32 v20, vcc_lo, v30, v20
	v_add_co_ci_u32_e32 v21, vcc_lo, v31, v21, vcc_lo
	s_waitcnt lgkmcnt(4)
	global_store_dwordx4 v[22:23], v[0:3], off
	s_waitcnt lgkmcnt(3)
	global_store_dwordx4 v[26:27], v[4:7], off
	;; [unrolled: 2-line block ×5, first 2 shown]
.LBB0_12:
	s_endpgm
	.section	.rodata,"a",@progbits
	.p2align	6, 0x0
	.amdhsa_kernel fft_rtc_back_len289_factors_17_17_wgs_119_tpt_17_dp_op_CI_CI_sbrc_xy_z_unaligned
		.amdhsa_group_segment_fixed_size 0
		.amdhsa_private_segment_fixed_size 0
		.amdhsa_kernarg_size 104
		.amdhsa_user_sgpr_count 6
		.amdhsa_user_sgpr_private_segment_buffer 1
		.amdhsa_user_sgpr_dispatch_ptr 0
		.amdhsa_user_sgpr_queue_ptr 0
		.amdhsa_user_sgpr_kernarg_segment_ptr 1
		.amdhsa_user_sgpr_dispatch_id 0
		.amdhsa_user_sgpr_flat_scratch_init 0
		.amdhsa_user_sgpr_private_segment_size 0
		.amdhsa_wavefront_size32 1
		.amdhsa_uses_dynamic_stack 0
		.amdhsa_system_sgpr_private_segment_wavefront_offset 0
		.amdhsa_system_sgpr_workgroup_id_x 1
		.amdhsa_system_sgpr_workgroup_id_y 0
		.amdhsa_system_sgpr_workgroup_id_z 0
		.amdhsa_system_sgpr_workgroup_info 0
		.amdhsa_system_vgpr_workitem_id 0
		.amdhsa_next_free_vgpr 211
		.amdhsa_next_free_sgpr 66
		.amdhsa_reserve_vcc 1
		.amdhsa_reserve_flat_scratch 0
		.amdhsa_float_round_mode_32 0
		.amdhsa_float_round_mode_16_64 0
		.amdhsa_float_denorm_mode_32 3
		.amdhsa_float_denorm_mode_16_64 3
		.amdhsa_dx10_clamp 1
		.amdhsa_ieee_mode 1
		.amdhsa_fp16_overflow 0
		.amdhsa_workgroup_processor_mode 1
		.amdhsa_memory_ordered 1
		.amdhsa_forward_progress 0
		.amdhsa_shared_vgpr_count 0
		.amdhsa_exception_fp_ieee_invalid_op 0
		.amdhsa_exception_fp_denorm_src 0
		.amdhsa_exception_fp_ieee_div_zero 0
		.amdhsa_exception_fp_ieee_overflow 0
		.amdhsa_exception_fp_ieee_underflow 0
		.amdhsa_exception_fp_ieee_inexact 0
		.amdhsa_exception_int_div_zero 0
	.end_amdhsa_kernel
	.text
.Lfunc_end0:
	.size	fft_rtc_back_len289_factors_17_17_wgs_119_tpt_17_dp_op_CI_CI_sbrc_xy_z_unaligned, .Lfunc_end0-fft_rtc_back_len289_factors_17_17_wgs_119_tpt_17_dp_op_CI_CI_sbrc_xy_z_unaligned
                                        ; -- End function
	.section	.AMDGPU.csdata,"",@progbits
; Kernel info:
; codeLenInByte = 17068
; NumSgprs: 68
; NumVgprs: 211
; ScratchSize: 0
; MemoryBound: 0
; FloatMode: 240
; IeeeMode: 1
; LDSByteSize: 0 bytes/workgroup (compile time only)
; SGPRBlocks: 8
; VGPRBlocks: 26
; NumSGPRsForWavesPerEU: 68
; NumVGPRsForWavesPerEU: 211
; Occupancy: 4
; WaveLimiterHint : 1
; COMPUTE_PGM_RSRC2:SCRATCH_EN: 0
; COMPUTE_PGM_RSRC2:USER_SGPR: 6
; COMPUTE_PGM_RSRC2:TRAP_HANDLER: 0
; COMPUTE_PGM_RSRC2:TGID_X_EN: 1
; COMPUTE_PGM_RSRC2:TGID_Y_EN: 0
; COMPUTE_PGM_RSRC2:TGID_Z_EN: 0
; COMPUTE_PGM_RSRC2:TIDIG_COMP_CNT: 0
	.text
	.p2alignl 6, 3214868480
	.fill 48, 4, 3214868480
	.type	__hip_cuid_11906fe7f0afa9c0,@object ; @__hip_cuid_11906fe7f0afa9c0
	.section	.bss,"aw",@nobits
	.globl	__hip_cuid_11906fe7f0afa9c0
__hip_cuid_11906fe7f0afa9c0:
	.byte	0                               ; 0x0
	.size	__hip_cuid_11906fe7f0afa9c0, 1

	.ident	"AMD clang version 19.0.0git (https://github.com/RadeonOpenCompute/llvm-project roc-6.4.0 25133 c7fe45cf4b819c5991fe208aaa96edf142730f1d)"
	.section	".note.GNU-stack","",@progbits
	.addrsig
	.addrsig_sym __hip_cuid_11906fe7f0afa9c0
	.amdgpu_metadata
---
amdhsa.kernels:
  - .args:
      - .actual_access:  read_only
        .address_space:  global
        .offset:         0
        .size:           8
        .value_kind:     global_buffer
      - .offset:         8
        .size:           8
        .value_kind:     by_value
      - .actual_access:  read_only
        .address_space:  global
        .offset:         16
        .size:           8
        .value_kind:     global_buffer
      - .actual_access:  read_only
        .address_space:  global
        .offset:         24
        .size:           8
        .value_kind:     global_buffer
      - .actual_access:  read_only
        .address_space:  global
        .offset:         32
        .size:           8
        .value_kind:     global_buffer
      - .offset:         40
        .size:           8
        .value_kind:     by_value
      - .actual_access:  read_only
        .address_space:  global
        .offset:         48
        .size:           8
        .value_kind:     global_buffer
      - .actual_access:  read_only
        .address_space:  global
        .offset:         56
        .size:           8
        .value_kind:     global_buffer
      - .offset:         64
        .size:           4
        .value_kind:     by_value
      - .actual_access:  read_only
        .address_space:  global
        .offset:         72
        .size:           8
        .value_kind:     global_buffer
      - .actual_access:  read_only
        .address_space:  global
        .offset:         80
        .size:           8
        .value_kind:     global_buffer
      - .actual_access:  read_only
        .address_space:  global
        .offset:         88
        .size:           8
        .value_kind:     global_buffer
      - .actual_access:  write_only
        .address_space:  global
        .offset:         96
        .size:           8
        .value_kind:     global_buffer
    .group_segment_fixed_size: 0
    .kernarg_segment_align: 8
    .kernarg_segment_size: 104
    .language:       OpenCL C
    .language_version:
      - 2
      - 0
    .max_flat_workgroup_size: 119
    .name:           fft_rtc_back_len289_factors_17_17_wgs_119_tpt_17_dp_op_CI_CI_sbrc_xy_z_unaligned
    .private_segment_fixed_size: 0
    .sgpr_count:     68
    .sgpr_spill_count: 0
    .symbol:         fft_rtc_back_len289_factors_17_17_wgs_119_tpt_17_dp_op_CI_CI_sbrc_xy_z_unaligned.kd
    .uniform_work_group_size: 1
    .uses_dynamic_stack: false
    .vgpr_count:     211
    .vgpr_spill_count: 0
    .wavefront_size: 32
    .workgroup_processor_mode: 1
amdhsa.target:   amdgcn-amd-amdhsa--gfx1030
amdhsa.version:
  - 1
  - 2
...

	.end_amdgpu_metadata
